;; amdgpu-corpus repo=zjin-lcf/HeCBench kind=compiled arch=gfx1100 opt=O3
	.text
	.amdgcn_target "amdgcn-amd-amdhsa--gfx1100"
	.amdhsa_code_object_version 6
	.section	.text._Z15resize_bilinearIhLm8EEvPT_miiPKS0_iiffb,"axG",@progbits,_Z15resize_bilinearIhLm8EEvPT_miiPKS0_iiffb,comdat
	.protected	_Z15resize_bilinearIhLm8EEvPT_miiPKS0_iiffb ; -- Begin function _Z15resize_bilinearIhLm8EEvPT_miiPKS0_iiffb
	.globl	_Z15resize_bilinearIhLm8EEvPT_miiPKS0_iiffb
	.p2align	8
	.type	_Z15resize_bilinearIhLm8EEvPT_miiPKS0_iiffb,@function
_Z15resize_bilinearIhLm8EEvPT_miiPKS0_iiffb: ; @_Z15resize_bilinearIhLm8EEvPT_miiPKS0_iiffb
; %bb.0:
	s_load_b128 s[4:7], s[0:1], 0x8
	s_waitcnt lgkmcnt(0)
	s_mul_i32 s12, s7, s6
	s_delay_alu instid0(SALU_CYCLE_1) | instskip(NEXT) | instid1(SALU_CYCLE_1)
	s_ashr_i32 s13, s12, 31
	s_or_b64 s[8:9], s[4:5], s[12:13]
	s_mov_b32 s8, 0
	s_delay_alu instid0(SALU_CYCLE_1)
	s_cmp_lg_u64 s[8:9], 0
	s_cbranch_scc0 .LBB0_18
; %bb.1:
	v_cvt_f32_u32_e32 v1, s12
	v_cvt_f32_u32_e32 v2, s13
	s_sub_u32 s9, 0, s12
	s_subb_u32 s10, 0, s13
	s_delay_alu instid0(VALU_DEP_1) | instskip(NEXT) | instid1(VALU_DEP_1)
	v_fmamk_f32 v1, v2, 0x4f800000, v1
	v_rcp_f32_e32 v1, v1
	s_waitcnt_depctr 0xfff
	v_mul_f32_e32 v1, 0x5f7ffffc, v1
	s_delay_alu instid0(VALU_DEP_1) | instskip(NEXT) | instid1(VALU_DEP_1)
	v_mul_f32_e32 v2, 0x2f800000, v1
	v_trunc_f32_e32 v2, v2
	s_delay_alu instid0(VALU_DEP_1) | instskip(SKIP_1) | instid1(VALU_DEP_2)
	v_fmamk_f32 v1, v2, 0xcf800000, v1
	v_cvt_u32_f32_e32 v2, v2
	v_cvt_u32_f32_e32 v1, v1
	s_delay_alu instid0(VALU_DEP_2) | instskip(NEXT) | instid1(VALU_DEP_2)
	v_readfirstlane_b32 s2, v2
	v_readfirstlane_b32 s3, v1
	s_delay_alu instid0(VALU_DEP_2) | instskip(NEXT) | instid1(VALU_DEP_1)
	s_mul_i32 s11, s9, s2
	s_mul_hi_u32 s16, s9, s3
	s_mul_i32 s14, s10, s3
	s_add_i32 s11, s16, s11
	s_mul_i32 s17, s9, s3
	s_add_i32 s11, s11, s14
	s_mul_hi_u32 s16, s3, s17
	s_mul_hi_u32 s18, s2, s17
	s_mul_i32 s14, s2, s17
	s_mul_hi_u32 s17, s3, s11
	s_mul_i32 s3, s3, s11
	s_mul_hi_u32 s19, s2, s11
	s_add_u32 s3, s16, s3
	s_addc_u32 s16, 0, s17
	s_add_u32 s3, s3, s14
	s_mul_i32 s11, s2, s11
	s_addc_u32 s3, s16, s18
	s_addc_u32 s14, s19, 0
	s_add_u32 s3, s3, s11
	s_addc_u32 s11, 0, s14
	v_add_co_u32 v1, s3, v1, s3
	s_delay_alu instid0(VALU_DEP_1) | instskip(SKIP_1) | instid1(VALU_DEP_1)
	s_cmp_lg_u32 s3, 0
	s_addc_u32 s2, s2, s11
	v_readfirstlane_b32 s3, v1
	s_mul_i32 s11, s9, s2
	s_delay_alu instid0(VALU_DEP_1)
	s_mul_hi_u32 s14, s9, s3
	s_mul_i32 s10, s10, s3
	s_add_i32 s11, s14, s11
	s_mul_i32 s9, s9, s3
	s_add_i32 s11, s11, s10
	s_mul_hi_u32 s14, s2, s9
	s_mul_i32 s16, s2, s9
	s_mul_hi_u32 s9, s3, s9
	s_mul_hi_u32 s17, s3, s11
	s_mul_i32 s3, s3, s11
	s_mul_hi_u32 s10, s2, s11
	s_add_u32 s3, s9, s3
	s_addc_u32 s9, 0, s17
	s_add_u32 s3, s3, s16
	s_mul_i32 s11, s2, s11
	s_addc_u32 s3, s9, s14
	s_addc_u32 s9, s10, 0
	s_add_u32 s3, s3, s11
	s_addc_u32 s9, 0, s9
	v_add_co_u32 v1, s3, v1, s3
	s_delay_alu instid0(VALU_DEP_1) | instskip(SKIP_1) | instid1(VALU_DEP_1)
	s_cmp_lg_u32 s3, 0
	s_addc_u32 s2, s2, s9
	v_readfirstlane_b32 s3, v1
	s_mul_i32 s10, s4, s2
	s_mul_hi_u32 s9, s4, s2
	s_mul_hi_u32 s11, s5, s2
	s_mul_i32 s2, s5, s2
	s_mul_hi_u32 s14, s4, s3
	s_mul_hi_u32 s16, s5, s3
	s_mul_i32 s3, s5, s3
	s_add_u32 s10, s14, s10
	s_addc_u32 s9, 0, s9
	s_add_u32 s3, s10, s3
	s_addc_u32 s3, s9, s16
	s_addc_u32 s9, s11, 0
	s_add_u32 s3, s3, s2
	s_addc_u32 s9, 0, s9
	s_mul_hi_u32 s2, s12, s3
	s_mul_i32 s11, s12, s9
	s_mul_i32 s14, s12, s3
	s_add_i32 s2, s2, s11
	v_sub_co_u32 v1, s11, s4, s14
	s_mul_i32 s10, s13, s3
	s_delay_alu instid0(SALU_CYCLE_1) | instskip(NEXT) | instid1(VALU_DEP_1)
	s_add_i32 s2, s2, s10
	v_sub_co_u32 v2, s14, v1, s12
	s_sub_i32 s10, s5, s2
	s_cmp_lg_u32 s11, 0
	s_subb_u32 s10, s10, s13
	s_cmp_lg_u32 s14, 0
	v_cmp_le_u32_e32 vcc_lo, s12, v2
	s_subb_u32 s10, s10, 0
	s_delay_alu instid0(SALU_CYCLE_1)
	s_cmp_ge_u32 s10, s13
	v_cndmask_b32_e64 v2, 0, -1, vcc_lo
	s_cselect_b32 s14, -1, 0
	s_cmp_eq_u32 s10, s13
	s_cselect_b32 vcc_lo, -1, 0
	s_add_u32 s10, s3, 1
	v_cndmask_b32_e32 v2, s14, v2, vcc_lo
	s_addc_u32 s14, s9, 0
	s_add_u32 s16, s3, 2
	s_addc_u32 s17, s9, 0
	v_mov_b32_e32 v3, s16
	s_cmp_lg_u32 s11, 0
	v_cmp_le_u32_e32 vcc_lo, s12, v1
	s_subb_u32 s2, s5, s2
	s_delay_alu instid0(SALU_CYCLE_1)
	s_cmp_ge_u32 s2, s13
	v_cndmask_b32_e64 v1, 0, -1, vcc_lo
	s_cselect_b32 s5, -1, 0
	s_cmp_eq_u32 s2, s13
	v_cmp_ne_u32_e32 vcc_lo, 0, v2
	s_cselect_b32 s2, -1, 0
	v_mov_b32_e32 v2, s17
	v_cndmask_b32_e64 v1, s5, v1, s2
	v_cndmask_b32_e32 v3, s10, v3, vcc_lo
	s_delay_alu instid0(VALU_DEP_3) | instskip(NEXT) | instid1(VALU_DEP_3)
	v_cndmask_b32_e32 v2, s14, v2, vcc_lo
	v_cmp_ne_u32_e32 vcc_lo, 0, v1
	s_delay_alu instid0(VALU_DEP_2) | instskip(NEXT) | instid1(VALU_DEP_4)
	v_cndmask_b32_e32 v2, s9, v2, vcc_lo
	v_cndmask_b32_e32 v1, s3, v3, vcc_lo
	s_and_not1_b32 vcc_lo, exec_lo, s8
	s_cbranch_vccnz .LBB0_3
.LBB0_2:
	v_cvt_f32_u32_e32 v1, s12
	s_sub_i32 s3, 0, s12
	s_delay_alu instid0(VALU_DEP_1) | instskip(SKIP_2) | instid1(VALU_DEP_1)
	v_rcp_iflag_f32_e32 v1, v1
	s_waitcnt_depctr 0xfff
	v_mul_f32_e32 v1, 0x4f7ffffe, v1
	v_cvt_u32_f32_e32 v1, v1
	s_delay_alu instid0(VALU_DEP_1) | instskip(NEXT) | instid1(VALU_DEP_1)
	v_readfirstlane_b32 s2, v1
	s_mul_i32 s3, s3, s2
	s_delay_alu instid0(SALU_CYCLE_1) | instskip(NEXT) | instid1(SALU_CYCLE_1)
	s_mul_hi_u32 s3, s2, s3
	s_add_i32 s2, s2, s3
	s_delay_alu instid0(SALU_CYCLE_1) | instskip(NEXT) | instid1(SALU_CYCLE_1)
	s_mul_hi_u32 s2, s4, s2
	s_mul_i32 s3, s2, s12
	s_delay_alu instid0(SALU_CYCLE_1)
	s_sub_i32 s3, s4, s3
	s_add_i32 s4, s2, 1
	s_sub_i32 s5, s3, s12
	s_cmp_ge_u32 s3, s12
	s_cselect_b32 s2, s4, s2
	s_cselect_b32 s3, s5, s3
	s_add_i32 s4, s2, 1
	s_cmp_ge_u32 s3, s12
	s_mov_b32 s3, 0
	s_cselect_b32 s2, s4, s2
	s_delay_alu instid0(SALU_CYCLE_1)
	v_dual_mov_b32 v1, s2 :: v_dual_mov_b32 v2, s3
.LBB0_3:
	s_load_b32 s4, s[0:1], 0x44
	s_delay_alu instid0(VALU_DEP_1) | instskip(SKIP_3) | instid1(VALU_DEP_2)
	v_alignbit_b32 v3, v2, v1, 3
	v_lshrrev_b32_e32 v1, 3, v2
	s_add_u32 s2, s0, 56
	s_addc_u32 s3, s1, 0
	v_mul_lo_u32 v4, v3, s13
	v_mul_hi_u32 v5, v3, s12
	v_mul_lo_u32 v6, v1, s12
	v_mul_lo_u32 v3, v3, s12
	s_waitcnt lgkmcnt(0)
	s_and_b32 s14, s4, 0xffff
	s_mov_b32 s4, exec_lo
	v_mad_u64_u32 v[1:2], null, s15, s14, v[0:1]
	s_delay_alu instid0(VALU_DEP_4) | instskip(NEXT) | instid1(VALU_DEP_1)
	v_add_nc_u32_e32 v0, v5, v4
	v_add_nc_u32_e32 v4, v0, v6
	s_delay_alu instid0(VALU_DEP_3) | instskip(NEXT) | instid1(VALU_DEP_1)
	v_ashrrev_i32_e32 v2, 31, v1
	v_cmpx_gt_u64_e64 v[3:4], v[1:2]
	s_cbranch_execz .LBB0_17
; %bb.4:
	s_clause 0x1
	s_load_b32 s4, s[0:1], 0x30
	s_load_b128 s[8:11], s[0:1], 0x20
	s_load_b32 s21, s[2:3], 0x0
	s_waitcnt lgkmcnt(0)
	s_bitcmp1_b32 s4, 0
	s_mul_i32 s20, s9, s8
	s_cselect_b32 s15, -1, 0
	s_abs_i32 s18, s12
	s_abs_i32 s19, s7
	v_cvt_f32_u32_e32 v0, s18
	v_cvt_f32_u32_e32 v2, s19
	s_sub_i32 s2, 0, s18
	s_sub_i32 s3, 0, s19
	s_mul_i32 s21, s21, s14
	v_rcp_iflag_f32_e32 v0, v0
	v_rcp_iflag_f32_e32 v2, v2
	s_add_i32 s14, s9, -1
	s_add_i32 s8, s8, -1
	s_ashr_i32 s22, s12, 31
	s_xor_b32 s23, s15, -1
	s_ashr_i32 s24, s7, 31
	s_ashr_i32 s25, s20, 31
	;; [unrolled: 1-line block ×3, first 2 shown]
	s_waitcnt_depctr 0xfff
	v_mul_f32_e32 v0, 0x4f7ffffe, v0
	s_delay_alu instid0(VALU_DEP_1) | instskip(NEXT) | instid1(VALU_DEP_1)
	v_cvt_u32_f32_e32 v0, v0
	v_mul_lo_u32 v5, s2, v0
	s_delay_alu instid0(VALU_DEP_1) | instskip(NEXT) | instid1(VALU_DEP_1)
	v_mul_hi_u32 v5, v0, v5
	v_dual_mul_f32 v2, 0x4f7ffffe, v2 :: v_dual_add_nc_u32 v7, v0, v5
	s_delay_alu instid0(VALU_DEP_1) | instskip(NEXT) | instid1(VALU_DEP_1)
	v_cvt_u32_f32_e32 v2, v2
	v_mul_lo_u32 v6, s3, v2
	s_clause 0x1
	s_load_b64 s[2:3], s[0:1], 0x0
	s_load_b64 s[4:5], s[0:1], 0x18
	s_mov_b32 s1, 0
	s_delay_alu instid0(VALU_DEP_1) | instskip(NEXT) | instid1(VALU_DEP_1)
	v_mul_hi_u32 v6, v2, v6
	v_add_nc_u32_e32 v8, v2, v6
	s_branch .LBB0_6
.LBB0_5:                                ;   in Loop: Header=BB0_6 Depth=1
	s_or_b32 exec_lo, exec_lo, s26
	v_add_nc_u32_e32 v1, s21, v1
	s_delay_alu instid0(VALU_DEP_1) | instskip(NEXT) | instid1(VALU_DEP_1)
	v_ashrrev_i32_e32 v2, 31, v1
	v_cmp_le_u64_e32 vcc_lo, v[3:4], v[1:2]
	s_or_b32 s1, vcc_lo, s1
	s_delay_alu instid0(SALU_CYCLE_1)
	s_and_not1_b32 exec_lo, exec_lo, s1
	s_cbranch_execz .LBB0_17
.LBB0_6:                                ; =>This Loop Header: Depth=1
                                        ;     Child Loop BB0_16 Depth 2
	v_sub_nc_u32_e32 v0, 0, v1
	s_mov_b32 s0, -1
	s_delay_alu instid0(VALU_DEP_1) | instskip(NEXT) | instid1(VALU_DEP_1)
	v_max_i32_e32 v2, v1, v0
	v_mul_hi_u32 v0, v2, v8
	s_delay_alu instid0(VALU_DEP_1) | instskip(NEXT) | instid1(VALU_DEP_1)
	v_mul_lo_u32 v0, v0, s19
	v_sub_nc_u32_e32 v0, v2, v0
	s_delay_alu instid0(VALU_DEP_1) | instskip(SKIP_1) | instid1(VALU_DEP_2)
	v_subrev_nc_u32_e32 v5, s19, v0
	v_cmp_le_u32_e32 vcc_lo, s19, v0
	v_cndmask_b32_e32 v0, v0, v5, vcc_lo
	v_ashrrev_i32_e32 v5, 31, v1
	s_delay_alu instid0(VALU_DEP_2) | instskip(SKIP_1) | instid1(VALU_DEP_2)
	v_subrev_nc_u32_e32 v6, s19, v0
	v_cmp_le_u32_e32 vcc_lo, s19, v0
	v_cndmask_b32_e32 v0, v0, v6, vcc_lo
	s_and_b32 vcc_lo, exec_lo, s23
	s_delay_alu instid0(VALU_DEP_1) | instskip(NEXT) | instid1(VALU_DEP_1)
	v_xor_b32_e32 v0, v0, v5
	v_sub_nc_u32_e32 v6, v0, v5
	s_delay_alu instid0(VALU_DEP_1)
	v_cvt_f32_i32_e32 v9, v6
                                        ; implicit-def: $vgpr6
	s_cbranch_vccz .LBB0_8
; %bb.7:                                ;   in Loop: Header=BB0_6 Depth=1
	s_delay_alu instid0(VALU_DEP_1)
	v_mul_f32_e32 v6, s11, v9
	s_mov_b32 s0, 0
.LBB0_8:                                ;   in Loop: Header=BB0_6 Depth=1
	s_delay_alu instid0(SALU_CYCLE_1)
	s_and_not1_b32 vcc_lo, exec_lo, s0
	s_cbranch_vccnz .LBB0_10
; %bb.9:                                ;   in Loop: Header=BB0_6 Depth=1
	s_delay_alu instid0(VALU_DEP_1) | instskip(NEXT) | instid1(VALU_DEP_1)
	v_add_f32_e32 v6, 0.5, v9
	v_fma_f32 v6, v6, s11, -0.5
	s_delay_alu instid0(VALU_DEP_1)
	v_max_f32_e32 v6, 0, v6
.LBB0_10:                               ;   in Loop: Header=BB0_6 Depth=1
	v_mul_hi_u32 v9, v2, v7
	s_delay_alu instid0(VALU_DEP_1) | instskip(NEXT) | instid1(VALU_DEP_1)
	v_mul_lo_u32 v10, v9, s18
	v_sub_nc_u32_e32 v2, v2, v10
	v_add_nc_u32_e32 v10, 1, v9
	s_delay_alu instid0(VALU_DEP_2) | instskip(SKIP_1) | instid1(VALU_DEP_2)
	v_subrev_nc_u32_e32 v11, s18, v2
	v_cmp_le_u32_e32 vcc_lo, s18, v2
	v_dual_cndmask_b32 v9, v9, v10 :: v_dual_cndmask_b32 v2, v2, v11
	v_xor_b32_e32 v11, s22, v5
	s_delay_alu instid0(VALU_DEP_2) | instskip(NEXT) | instid1(VALU_DEP_3)
	v_add_nc_u32_e32 v10, 1, v9
	v_cmp_le_u32_e32 vcc_lo, s18, v2
	s_delay_alu instid0(VALU_DEP_2) | instskip(NEXT) | instid1(VALU_DEP_1)
	v_cndmask_b32_e32 v2, v9, v10, vcc_lo
	v_xor_b32_e32 v2, v2, v11
	s_delay_alu instid0(VALU_DEP_1) | instskip(NEXT) | instid1(VALU_DEP_1)
	v_sub_nc_u32_e32 v9, v2, v11
	v_mul_lo_u32 v2, v9, s12
	s_delay_alu instid0(VALU_DEP_1) | instskip(NEXT) | instid1(VALU_DEP_1)
	v_sub_nc_u32_e32 v2, v1, v2
	v_sub_nc_u32_e32 v10, 0, v2
	s_delay_alu instid0(VALU_DEP_1) | instskip(SKIP_1) | instid1(VALU_DEP_2)
	v_max_i32_e32 v10, v2, v10
	v_ashrrev_i32_e32 v2, 31, v2
	v_mul_hi_u32 v11, v10, v8
	s_delay_alu instid0(VALU_DEP_1) | instskip(NEXT) | instid1(VALU_DEP_1)
	v_mul_lo_u32 v12, v11, s19
	v_sub_nc_u32_e32 v10, v10, v12
	v_add_nc_u32_e32 v12, 1, v11
	s_delay_alu instid0(VALU_DEP_2) | instskip(SKIP_1) | instid1(VALU_DEP_2)
	v_subrev_nc_u32_e32 v13, s19, v10
	v_cmp_le_u32_e32 vcc_lo, s19, v10
	v_dual_cndmask_b32 v11, v11, v12 :: v_dual_cndmask_b32 v10, v10, v13
	v_xor_b32_e32 v12, s24, v2
	s_delay_alu instid0(VALU_DEP_2) | instskip(NEXT) | instid1(VALU_DEP_3)
	v_add_nc_u32_e32 v13, 1, v11
	v_cmp_le_u32_e32 vcc_lo, s19, v10
	s_delay_alu instid0(VALU_DEP_2) | instskip(SKIP_1) | instid1(VALU_DEP_1)
	v_cndmask_b32_e32 v2, v11, v13, vcc_lo
	s_and_b32 vcc_lo, exec_lo, s23
	v_xor_b32_e32 v2, v2, v12
	s_delay_alu instid0(VALU_DEP_1) | instskip(NEXT) | instid1(VALU_DEP_1)
	v_sub_nc_u32_e32 v10, v2, v12
	v_cvt_f32_i32_e32 v10, v10
	s_cbranch_vccz .LBB0_12
; %bb.11:                               ;   in Loop: Header=BB0_6 Depth=1
	s_delay_alu instid0(VALU_DEP_1)
	v_mul_f32_e32 v11, s10, v10
	s_cbranch_execz .LBB0_13
	s_branch .LBB0_14
.LBB0_12:                               ;   in Loop: Header=BB0_6 Depth=1
                                        ; implicit-def: $vgpr11
.LBB0_13:                               ;   in Loop: Header=BB0_6 Depth=1
	s_delay_alu instid0(VALU_DEP_1) | instskip(NEXT) | instid1(VALU_DEP_1)
	v_add_f32_e32 v10, 0.5, v10
	v_fma_f32 v10, v10, s10, -0.5
	s_delay_alu instid0(VALU_DEP_1)
	v_max_f32_e32 v11, 0, v10
.LBB0_14:                               ;   in Loop: Header=BB0_6 Depth=1
	v_lshlrev_b32_e32 v9, 3, v9
	s_mov_b32 s26, exec_lo
	s_delay_alu instid0(VALU_DEP_1)
	v_cmpx_ne_u32_e32 0x7ffffff8, v9
	s_cbranch_execz .LBB0_5
; %bb.15:                               ;   in Loop: Header=BB0_6 Depth=1
	v_cvt_i32_f32_e32 v15, v11
	v_cvt_i32_f32_e32 v21, v6
	v_mul_lo_u32 v13, v9, s20
	s_mov_b32 s27, 0
	s_waitcnt lgkmcnt(0)
	s_mov_b64 s[16:17], s[4:5]
	v_add_nc_u32_e32 v16, 1, v15
	v_min_i32_e32 v18, s8, v15
	v_add_nc_u32_e32 v14, 1, v21
	v_cvt_f32_i32_e32 v15, v15
	v_add_nc_u32_e32 v10, 8, v9
	v_min_i32_e32 v20, s8, v16
	v_cvt_f32_i32_e32 v19, v21
	v_mad_u64_u32 v[16:17], null, v18, s9, v[13:14]
	v_sub_f32_e32 v11, v11, v15
	v_mad_u64_u32 v[17:18], null, s6, v9, v[2:3]
	v_ashrrev_i32_e32 v15, 31, v14
	v_sub_f32_e32 v6, v6, v19
	v_mad_u64_u32 v[18:19], null, v20, s9, v[13:14]
	v_cvt_i32_f32_e32 v2, v11
	s_delay_alu instid0(VALU_DEP_4) | instskip(SKIP_4) | instid1(VALU_DEP_4)
	v_cmp_lt_i64_e32 vcc_lo, s[14:15], v[14:15]
	v_sub_nc_u32_e32 v12, v17, v12
	v_cvt_i32_f32_e32 v11, v6
	v_ashrrev_i32_e32 v6, 31, v21
	v_ashrrev_i32_e32 v17, 31, v16
	v_mad_u64_u32 v[19:20], null, s7, v12, v[0:1]
	v_cndmask_b32_e64 v23, v14, s14, vcc_lo
	v_cndmask_b32_e64 v22, v15, s15, vcc_lo
	v_add_co_u32 v0, vcc_lo, v21, v16
	v_add_co_ci_u32_e32 v12, vcc_lo, v6, v17, vcc_lo
	s_delay_alu instid0(VALU_DEP_4) | instskip(SKIP_4) | instid1(VALU_DEP_4)
	v_add_co_u32 v13, vcc_lo, v23, v16
	v_ashrrev_i32_e32 v20, 31, v18
	v_sub_nc_u32_e32 v5, v19, v5
	v_add_co_ci_u32_e32 v14, vcc_lo, v22, v17, vcc_lo
	v_add_co_u32 v15, vcc_lo, v21, v18
	v_add_co_ci_u32_e32 v16, vcc_lo, v6, v20, vcc_lo
	s_delay_alu instid0(VALU_DEP_4) | instskip(SKIP_3) | instid1(VALU_DEP_4)
	v_ashrrev_i32_e32 v6, 31, v5
	v_add_co_u32 v17, vcc_lo, v23, v18
	v_add_co_ci_u32_e32 v18, vcc_lo, v22, v20, vcc_lo
	v_add_co_u32 v5, vcc_lo, s2, v5
	v_add_co_ci_u32_e32 v6, vcc_lo, s3, v6, vcc_lo
.LBB0_16:                               ;   Parent Loop BB0_6 Depth=1
                                        ; =>  This Inner Loop Header: Depth=2
	v_add_co_u32 v19, vcc_lo, s16, v13
	v_add_co_ci_u32_e32 v20, vcc_lo, s17, v14, vcc_lo
	v_add_co_u32 v21, vcc_lo, s16, v15
	v_add_co_ci_u32_e32 v22, vcc_lo, s17, v16, vcc_lo
	;; [unrolled: 2-line block ×3, first 2 shown]
	s_clause 0x2
	global_load_u8 v19, v[19:20], off
	global_load_u8 v20, v[21:22], off
	;; [unrolled: 1-line block ×3, first 2 shown]
	v_add_co_u32 v25, vcc_lo, s16, v17
	v_add_co_ci_u32_e32 v26, vcc_lo, s17, v18, vcc_lo
	v_add_nc_u32_e32 v9, 1, v9
	s_add_u32 s16, s16, s20
	s_addc_u32 s17, s17, s25
	global_load_u8 v22, v[25:26], off
	v_cmp_ge_i32_e32 vcc_lo, v9, v10
	s_or_b32 s27, vcc_lo, s27
	s_waitcnt vmcnt(2)
	v_add_nc_u16 v23, v19, v20
	s_waitcnt vmcnt(1)
	v_sub_nc_u16 v19, v19, v21
	v_sub_nc_u16 v20, v20, v21
	s_delay_alu instid0(VALU_DEP_3) | instskip(NEXT) | instid1(VALU_DEP_3)
	v_sub_nc_u16 v23, v21, v23
	v_mad_u16 v19, v19, v11, v21
	s_waitcnt vmcnt(0)
	s_delay_alu instid0(VALU_DEP_2) | instskip(NEXT) | instid1(VALU_DEP_1)
	v_add_nc_u16 v21, v23, v22
	v_mad_u16 v20, v21, v11, v20
	s_delay_alu instid0(VALU_DEP_1) | instskip(SKIP_2) | instid1(VALU_DEP_1)
	v_mad_u16 v19, v20, v2, v19
	global_store_b8 v[5:6], v19, off
	v_add_co_u32 v5, s0, v5, s12
	v_add_co_ci_u32_e64 v6, s0, s13, v6, s0
	s_and_not1_b32 exec_lo, exec_lo, s27
	s_cbranch_execnz .LBB0_16
	s_branch .LBB0_5
.LBB0_17:
	s_nop 0
	s_sendmsg sendmsg(MSG_DEALLOC_VGPRS)
	s_endpgm
.LBB0_18:
                                        ; implicit-def: $vgpr1_vgpr2
	s_branch .LBB0_2
	.section	.rodata,"a",@progbits
	.p2align	6, 0x0
	.amdhsa_kernel _Z15resize_bilinearIhLm8EEvPT_miiPKS0_iiffb
		.amdhsa_group_segment_fixed_size 0
		.amdhsa_private_segment_fixed_size 0
		.amdhsa_kernarg_size 312
		.amdhsa_user_sgpr_count 15
		.amdhsa_user_sgpr_dispatch_ptr 0
		.amdhsa_user_sgpr_queue_ptr 0
		.amdhsa_user_sgpr_kernarg_segment_ptr 1
		.amdhsa_user_sgpr_dispatch_id 0
		.amdhsa_user_sgpr_private_segment_size 0
		.amdhsa_wavefront_size32 1
		.amdhsa_uses_dynamic_stack 0
		.amdhsa_enable_private_segment 0
		.amdhsa_system_sgpr_workgroup_id_x 1
		.amdhsa_system_sgpr_workgroup_id_y 0
		.amdhsa_system_sgpr_workgroup_id_z 0
		.amdhsa_system_sgpr_workgroup_info 0
		.amdhsa_system_vgpr_workitem_id 0
		.amdhsa_next_free_vgpr 27
		.amdhsa_next_free_sgpr 28
		.amdhsa_reserve_vcc 1
		.amdhsa_float_round_mode_32 0
		.amdhsa_float_round_mode_16_64 0
		.amdhsa_float_denorm_mode_32 3
		.amdhsa_float_denorm_mode_16_64 3
		.amdhsa_dx10_clamp 1
		.amdhsa_ieee_mode 1
		.amdhsa_fp16_overflow 0
		.amdhsa_workgroup_processor_mode 1
		.amdhsa_memory_ordered 1
		.amdhsa_forward_progress 0
		.amdhsa_shared_vgpr_count 0
		.amdhsa_exception_fp_ieee_invalid_op 0
		.amdhsa_exception_fp_denorm_src 0
		.amdhsa_exception_fp_ieee_div_zero 0
		.amdhsa_exception_fp_ieee_overflow 0
		.amdhsa_exception_fp_ieee_underflow 0
		.amdhsa_exception_fp_ieee_inexact 0
		.amdhsa_exception_int_div_zero 0
	.end_amdhsa_kernel
	.section	.text._Z15resize_bilinearIhLm8EEvPT_miiPKS0_iiffb,"axG",@progbits,_Z15resize_bilinearIhLm8EEvPT_miiPKS0_iiffb,comdat
.Lfunc_end0:
	.size	_Z15resize_bilinearIhLm8EEvPT_miiPKS0_iiffb, .Lfunc_end0-_Z15resize_bilinearIhLm8EEvPT_miiPKS0_iiffb
                                        ; -- End function
	.section	.AMDGPU.csdata,"",@progbits
; Kernel info:
; codeLenInByte = 2016
; NumSgprs: 30
; NumVgprs: 27
; ScratchSize: 0
; MemoryBound: 0
; FloatMode: 240
; IeeeMode: 1
; LDSByteSize: 0 bytes/workgroup (compile time only)
; SGPRBlocks: 3
; VGPRBlocks: 3
; NumSGPRsForWavesPerEU: 30
; NumVGPRsForWavesPerEU: 27
; Occupancy: 16
; WaveLimiterHint : 0
; COMPUTE_PGM_RSRC2:SCRATCH_EN: 0
; COMPUTE_PGM_RSRC2:USER_SGPR: 15
; COMPUTE_PGM_RSRC2:TRAP_HANDLER: 0
; COMPUTE_PGM_RSRC2:TGID_X_EN: 1
; COMPUTE_PGM_RSRC2:TGID_Y_EN: 0
; COMPUTE_PGM_RSRC2:TGID_Z_EN: 0
; COMPUTE_PGM_RSRC2:TIDIG_COMP_CNT: 0
	.section	.text._Z6resizeIhLm8EEvPT_miiPKS0_iiffbb,"axG",@progbits,_Z6resizeIhLm8EEvPT_miiPKS0_iiffbb,comdat
	.protected	_Z6resizeIhLm8EEvPT_miiPKS0_iiffbb ; -- Begin function _Z6resizeIhLm8EEvPT_miiPKS0_iiffbb
	.globl	_Z6resizeIhLm8EEvPT_miiPKS0_iiffbb
	.p2align	8
	.type	_Z6resizeIhLm8EEvPT_miiPKS0_iiffbb,@function
_Z6resizeIhLm8EEvPT_miiPKS0_iiffbb:     ; @_Z6resizeIhLm8EEvPT_miiPKS0_iiffbb
; %bb.0:
	s_load_b128 s[4:7], s[0:1], 0x8
	s_waitcnt lgkmcnt(0)
	s_mul_i32 s12, s7, s6
	s_delay_alu instid0(SALU_CYCLE_1) | instskip(NEXT) | instid1(SALU_CYCLE_1)
	s_ashr_i32 s13, s12, 31
	s_or_b64 s[8:9], s[4:5], s[12:13]
	s_mov_b32 s8, 0
	s_delay_alu instid0(SALU_CYCLE_1)
	s_cmp_lg_u64 s[8:9], 0
	s_cbranch_scc0 .LBB1_15
; %bb.1:
	v_cvt_f32_u32_e32 v1, s12
	v_cvt_f32_u32_e32 v2, s13
	s_sub_u32 s6, 0, s12
	s_subb_u32 s9, 0, s13
	s_delay_alu instid0(VALU_DEP_1) | instskip(NEXT) | instid1(VALU_DEP_1)
	v_fmamk_f32 v1, v2, 0x4f800000, v1
	v_rcp_f32_e32 v1, v1
	s_waitcnt_depctr 0xfff
	v_mul_f32_e32 v1, 0x5f7ffffc, v1
	s_delay_alu instid0(VALU_DEP_1) | instskip(NEXT) | instid1(VALU_DEP_1)
	v_mul_f32_e32 v2, 0x2f800000, v1
	v_trunc_f32_e32 v2, v2
	s_delay_alu instid0(VALU_DEP_1) | instskip(SKIP_1) | instid1(VALU_DEP_2)
	v_fmamk_f32 v1, v2, 0xcf800000, v1
	v_cvt_u32_f32_e32 v2, v2
	v_cvt_u32_f32_e32 v1, v1
	s_delay_alu instid0(VALU_DEP_2) | instskip(NEXT) | instid1(VALU_DEP_2)
	v_readfirstlane_b32 s2, v2
	v_readfirstlane_b32 s3, v1
	s_delay_alu instid0(VALU_DEP_2) | instskip(NEXT) | instid1(VALU_DEP_1)
	s_mul_i32 s10, s6, s2
	s_mul_hi_u32 s14, s6, s3
	s_mul_i32 s11, s9, s3
	s_add_i32 s10, s14, s10
	s_mul_i32 s16, s6, s3
	s_add_i32 s10, s10, s11
	s_mul_hi_u32 s14, s3, s16
	s_mul_hi_u32 s17, s2, s16
	s_mul_i32 s11, s2, s16
	s_mul_hi_u32 s16, s3, s10
	s_mul_i32 s3, s3, s10
	s_mul_hi_u32 s18, s2, s10
	s_add_u32 s3, s14, s3
	s_addc_u32 s14, 0, s16
	s_add_u32 s3, s3, s11
	s_mul_i32 s10, s2, s10
	s_addc_u32 s3, s14, s17
	s_addc_u32 s11, s18, 0
	s_add_u32 s3, s3, s10
	s_addc_u32 s10, 0, s11
	v_add_co_u32 v1, s3, v1, s3
	s_delay_alu instid0(VALU_DEP_1) | instskip(SKIP_1) | instid1(VALU_DEP_1)
	s_cmp_lg_u32 s3, 0
	s_addc_u32 s2, s2, s10
	v_readfirstlane_b32 s3, v1
	s_mul_i32 s10, s6, s2
	s_delay_alu instid0(VALU_DEP_1)
	s_mul_hi_u32 s11, s6, s3
	s_mul_i32 s9, s9, s3
	s_add_i32 s10, s11, s10
	s_mul_i32 s6, s6, s3
	s_add_i32 s10, s10, s9
	s_mul_hi_u32 s11, s2, s6
	s_mul_i32 s14, s2, s6
	s_mul_hi_u32 s6, s3, s6
	s_mul_hi_u32 s16, s3, s10
	s_mul_i32 s3, s3, s10
	s_mul_hi_u32 s9, s2, s10
	s_add_u32 s3, s6, s3
	s_addc_u32 s6, 0, s16
	s_add_u32 s3, s3, s14
	s_mul_i32 s10, s2, s10
	s_addc_u32 s3, s6, s11
	s_addc_u32 s6, s9, 0
	s_add_u32 s3, s3, s10
	s_addc_u32 s6, 0, s6
	v_add_co_u32 v1, s3, v1, s3
	s_delay_alu instid0(VALU_DEP_1) | instskip(SKIP_1) | instid1(VALU_DEP_1)
	s_cmp_lg_u32 s3, 0
	s_addc_u32 s2, s2, s6
	v_readfirstlane_b32 s3, v1
	s_mul_i32 s9, s4, s2
	s_mul_hi_u32 s6, s4, s2
	s_mul_hi_u32 s10, s5, s2
	s_mul_i32 s2, s5, s2
	s_mul_hi_u32 s11, s4, s3
	s_mul_hi_u32 s14, s5, s3
	s_mul_i32 s3, s5, s3
	s_add_u32 s9, s11, s9
	s_addc_u32 s6, 0, s6
	s_add_u32 s3, s9, s3
	s_addc_u32 s3, s6, s14
	s_addc_u32 s6, s10, 0
	s_add_u32 s3, s3, s2
	s_addc_u32 s6, 0, s6
	s_mul_hi_u32 s2, s12, s3
	s_mul_i32 s10, s12, s6
	s_mul_i32 s11, s12, s3
	s_add_i32 s2, s2, s10
	v_sub_co_u32 v1, s10, s4, s11
	s_mul_i32 s9, s13, s3
	s_delay_alu instid0(SALU_CYCLE_1) | instskip(NEXT) | instid1(VALU_DEP_1)
	s_add_i32 s2, s2, s9
	v_sub_co_u32 v2, s11, v1, s12
	s_sub_i32 s9, s5, s2
	s_cmp_lg_u32 s10, 0
	s_subb_u32 s9, s9, s13
	s_cmp_lg_u32 s11, 0
	v_cmp_le_u32_e32 vcc_lo, s12, v2
	s_subb_u32 s9, s9, 0
	s_delay_alu instid0(SALU_CYCLE_1)
	s_cmp_ge_u32 s9, s13
	v_cndmask_b32_e64 v2, 0, -1, vcc_lo
	s_cselect_b32 s11, -1, 0
	s_cmp_eq_u32 s9, s13
	s_cselect_b32 vcc_lo, -1, 0
	s_add_u32 s9, s3, 1
	v_cndmask_b32_e32 v2, s11, v2, vcc_lo
	s_addc_u32 s11, s6, 0
	s_add_u32 s14, s3, 2
	s_addc_u32 s16, s6, 0
	v_mov_b32_e32 v3, s14
	s_cmp_lg_u32 s10, 0
	v_cmp_le_u32_e32 vcc_lo, s12, v1
	s_subb_u32 s2, s5, s2
	s_delay_alu instid0(SALU_CYCLE_1)
	s_cmp_ge_u32 s2, s13
	v_cndmask_b32_e64 v1, 0, -1, vcc_lo
	s_cselect_b32 s5, -1, 0
	s_cmp_eq_u32 s2, s13
	v_cmp_ne_u32_e32 vcc_lo, 0, v2
	s_cselect_b32 s2, -1, 0
	v_mov_b32_e32 v2, s16
	v_cndmask_b32_e64 v1, s5, v1, s2
	v_cndmask_b32_e32 v3, s9, v3, vcc_lo
	s_delay_alu instid0(VALU_DEP_3) | instskip(NEXT) | instid1(VALU_DEP_3)
	v_cndmask_b32_e32 v2, s11, v2, vcc_lo
	v_cmp_ne_u32_e32 vcc_lo, 0, v1
	s_delay_alu instid0(VALU_DEP_2) | instskip(NEXT) | instid1(VALU_DEP_4)
	v_cndmask_b32_e32 v2, s6, v2, vcc_lo
	v_cndmask_b32_e32 v1, s3, v3, vcc_lo
	s_and_not1_b32 vcc_lo, exec_lo, s8
	s_cbranch_vccnz .LBB1_3
.LBB1_2:
	v_cvt_f32_u32_e32 v1, s12
	s_sub_i32 s3, 0, s12
	s_delay_alu instid0(VALU_DEP_1) | instskip(SKIP_2) | instid1(VALU_DEP_1)
	v_rcp_iflag_f32_e32 v1, v1
	s_waitcnt_depctr 0xfff
	v_mul_f32_e32 v1, 0x4f7ffffe, v1
	v_cvt_u32_f32_e32 v1, v1
	s_delay_alu instid0(VALU_DEP_1) | instskip(NEXT) | instid1(VALU_DEP_1)
	v_readfirstlane_b32 s2, v1
	s_mul_i32 s3, s3, s2
	s_delay_alu instid0(SALU_CYCLE_1) | instskip(NEXT) | instid1(SALU_CYCLE_1)
	s_mul_hi_u32 s3, s2, s3
	s_add_i32 s2, s2, s3
	s_delay_alu instid0(SALU_CYCLE_1) | instskip(NEXT) | instid1(SALU_CYCLE_1)
	s_mul_hi_u32 s2, s4, s2
	s_mul_i32 s3, s2, s12
	s_delay_alu instid0(SALU_CYCLE_1)
	s_sub_i32 s3, s4, s3
	s_add_i32 s4, s2, 1
	s_sub_i32 s5, s3, s12
	s_cmp_ge_u32 s3, s12
	s_cselect_b32 s2, s4, s2
	s_cselect_b32 s3, s5, s3
	s_add_i32 s4, s2, 1
	s_cmp_ge_u32 s3, s12
	s_mov_b32 s3, 0
	s_cselect_b32 s2, s4, s2
	s_delay_alu instid0(SALU_CYCLE_1)
	v_dual_mov_b32 v1, s2 :: v_dual_mov_b32 v2, s3
.LBB1_3:
	s_load_b32 s2, s[0:1], 0x44
	s_delay_alu instid0(VALU_DEP_1) | instskip(SKIP_3) | instid1(VALU_DEP_2)
	v_alignbit_b32 v3, v2, v1, 3
	v_lshrrev_b32_e32 v1, 3, v2
	s_add_u32 s4, s0, 56
	s_addc_u32 s5, s1, 0
	v_mul_lo_u32 v4, v3, s13
	v_mul_hi_u32 v5, v3, s12
	v_mul_lo_u32 v6, v1, s12
	v_mul_lo_u32 v3, v3, s12
	s_waitcnt lgkmcnt(0)
	s_and_b32 s18, s2, 0xffff
	s_mov_b32 s2, exec_lo
	v_mad_u64_u32 v[1:2], null, s15, s18, v[0:1]
	s_delay_alu instid0(VALU_DEP_4) | instskip(NEXT) | instid1(VALU_DEP_1)
	v_add_nc_u32_e32 v0, v5, v4
	v_add_nc_u32_e32 v4, v0, v6
	s_delay_alu instid0(VALU_DEP_3) | instskip(NEXT) | instid1(VALU_DEP_1)
	v_ashrrev_i32_e32 v2, 31, v1
	v_cmpx_gt_u64_e64 v[3:4], v[1:2]
	s_cbranch_execz .LBB1_14
; %bb.4:
	s_clause 0x1
	s_load_b32 s2, s[0:1], 0x30
	s_load_b128 s[8:11], s[0:1], 0x20
	s_load_b32 s19, s[4:5], 0x0
	s_waitcnt lgkmcnt(0)
	s_mul_i32 s17, s9, s8
	s_bitcmp1_b32 s2, 0
	s_mul_i32 s18, s19, s18
	s_cselect_b32 s3, -1, 0
	s_delay_alu instid0(SALU_CYCLE_1)
	s_xor_b32 s3, s3, -1
	s_bitcmp1_b32 s2, 8
	s_cselect_b32 s2, -1, 0
	s_abs_i32 s6, s12
	s_abs_i32 s16, s7
	v_cvt_f32_u32_e32 v0, s6
	v_cvt_f32_u32_e32 v2, s16
	s_sub_i32 s4, 0, s6
	s_sub_i32 s5, 0, s16
	s_add_i32 s19, s9, -1
	v_rcp_iflag_f32_e32 v0, v0
	v_rcp_iflag_f32_e32 v2, v2
	s_add_i32 s8, s8, -1
	s_ashr_i32 s20, s12, 31
	s_ashr_i32 s21, s7, 31
	;; [unrolled: 1-line block ×3, first 2 shown]
	s_sub_i32 s23, 0, s12
	s_waitcnt_depctr 0xfff
	v_mul_f32_e32 v0, 0x4f7ffffe, v0
	v_mul_f32_e32 v2, 0x4f7ffffe, v2
	s_delay_alu instid0(VALU_DEP_2) | instskip(NEXT) | instid1(VALU_DEP_2)
	v_cvt_u32_f32_e32 v0, v0
	v_cvt_u32_f32_e32 v2, v2
	s_delay_alu instid0(VALU_DEP_2) | instskip(NEXT) | instid1(VALU_DEP_2)
	v_mul_lo_u32 v5, s4, v0
	v_mul_lo_u32 v6, s5, v2
	s_clause 0x1
	s_load_b64 s[4:5], s[0:1], 0x0
	s_load_b64 s[14:15], s[0:1], 0x18
	s_mov_b32 s1, 0
	s_delay_alu instid0(VALU_DEP_2) | instskip(NEXT) | instid1(VALU_DEP_2)
	v_mul_hi_u32 v5, v0, v5
	v_mul_hi_u32 v6, v2, v6
	s_delay_alu instid0(VALU_DEP_2) | instskip(NEXT) | instid1(VALU_DEP_2)
	v_add_nc_u32_e32 v0, v0, v5
	v_add_nc_u32_e32 v8, v2, v6
	s_branch .LBB1_6
.LBB1_5:                                ;   in Loop: Header=BB1_6 Depth=1
	v_lshlrev_b32_e32 v7, 3, v10
	v_min_i32_e32 v5, s8, v5
	s_delay_alu instid0(VALU_DEP_3) | instskip(SKIP_4) | instid1(VALU_DEP_1)
	v_min_i32_e32 v6, s19, v6
	v_mul_lo_u32 v2, v2, s7
	v_add_nc_u32_e32 v1, s18, v1
	v_mul_lo_u32 v10, v7, s17
	v_mul_lo_u32 v5, v5, s9
	v_add3_u32 v5, v5, v10, v6
	s_delay_alu instid0(VALU_DEP_1) | instskip(SKIP_2) | instid1(VALU_DEP_2)
	v_ashrrev_i32_e32 v6, 31, v5
	s_waitcnt lgkmcnt(0)
	v_add_co_u32 v5, vcc_lo, s14, v5
	v_add_co_ci_u32_e32 v6, vcc_lo, s15, v6, vcc_lo
	s_delay_alu instid0(VALU_DEP_2) | instskip(NEXT) | instid1(VALU_DEP_2)
	v_add_co_u32 v10, vcc_lo, v5, s17
	v_add_co_ci_u32_e32 v11, vcc_lo, s22, v6, vcc_lo
	s_delay_alu instid0(VALU_DEP_2) | instskip(NEXT) | instid1(VALU_DEP_2)
	;; [unrolled: 3-line block ×3, first 2 shown]
	v_add_co_u32 v14, vcc_lo, v12, s17
	v_add_co_ci_u32_e32 v15, vcc_lo, s22, v13, vcc_lo
	s_clause 0x3
	global_load_u8 v16, v[5:6], off
	global_load_u8 v17, v[10:11], off
	global_load_u8 v18, v[12:13], off
	global_load_u8 v19, v[14:15], off
	v_add_co_u32 v5, vcc_lo, v14, s17
	v_add_co_ci_u32_e32 v6, vcc_lo, s22, v15, vcc_lo
	s_delay_alu instid0(VALU_DEP_2) | instskip(NEXT) | instid1(VALU_DEP_2)
	v_add_co_u32 v10, vcc_lo, v5, s17
	v_add_co_ci_u32_e32 v11, vcc_lo, s22, v6, vcc_lo
	s_delay_alu instid0(VALU_DEP_2) | instskip(NEXT) | instid1(VALU_DEP_2)
	;; [unrolled: 3-line block ×3, first 2 shown]
	v_add_co_u32 v14, vcc_lo, v12, s17
	v_add_co_ci_u32_e32 v15, vcc_lo, s22, v13, vcc_lo
	s_clause 0x1
	global_load_u8 v20, v[5:6], off
	global_load_u8 v21, v[10:11], off
	;; [unrolled: 1-line block ×4, first 2 shown]
	v_mul_lo_u32 v5, v7, s12
	s_delay_alu instid0(VALU_DEP_1) | instskip(NEXT) | instid1(VALU_DEP_1)
	v_add3_u32 v2, v2, v5, v9
	v_ashrrev_i32_e32 v6, 31, v2
	v_add_co_u32 v5, vcc_lo, s4, v2
	v_ashrrev_i32_e32 v2, 31, v1
	s_delay_alu instid0(VALU_DEP_3) | instskip(NEXT) | instid1(VALU_DEP_3)
	v_add_co_ci_u32_e32 v6, vcc_lo, s5, v6, vcc_lo
	v_add_co_u32 v9, vcc_lo, v5, s12
	s_delay_alu instid0(VALU_DEP_2) | instskip(NEXT) | instid1(VALU_DEP_2)
	v_add_co_ci_u32_e32 v10, vcc_lo, s13, v6, vcc_lo
	v_add_co_u32 v11, vcc_lo, v9, s12
	s_delay_alu instid0(VALU_DEP_2) | instskip(NEXT) | instid1(VALU_DEP_2)
	v_add_co_ci_u32_e32 v12, vcc_lo, s13, v10, vcc_lo
	v_add_co_u32 v13, vcc_lo, v11, s12
	s_delay_alu instid0(VALU_DEP_2)
	v_add_co_ci_u32_e32 v14, vcc_lo, s13, v12, vcc_lo
	s_waitcnt vmcnt(7)
	global_store_b8 v[5:6], v16, off
	s_waitcnt vmcnt(6)
	global_store_b8 v[9:10], v17, off
	;; [unrolled: 2-line block ×4, first 2 shown]
	v_add_co_u32 v5, vcc_lo, v13, s12
	v_add_co_ci_u32_e32 v6, vcc_lo, s13, v14, vcc_lo
	s_delay_alu instid0(VALU_DEP_2) | instskip(NEXT) | instid1(VALU_DEP_2)
	v_add_co_u32 v9, vcc_lo, v5, s12
	v_add_co_ci_u32_e32 v10, vcc_lo, s13, v6, vcc_lo
	s_waitcnt vmcnt(3)
	global_store_b8 v[5:6], v20, off
	s_waitcnt vmcnt(2)
	global_store_b8 v[9:10], v21, off
	v_add_co_u32 v11, vcc_lo, v9, s12
	v_add_co_ci_u32_e32 v12, vcc_lo, s13, v10, vcc_lo
	v_cmp_le_u64_e32 vcc_lo, v[3:4], v[1:2]
	s_delay_alu instid0(VALU_DEP_3) | instskip(NEXT) | instid1(VALU_DEP_1)
	v_add_co_u32 v13, s0, v11, s12
	v_add_co_ci_u32_e64 v14, s0, s13, v12, s0
	s_waitcnt vmcnt(1)
	global_store_b8 v[11:12], v22, off
	s_waitcnt vmcnt(0)
	global_store_b8 v[13:14], v15, off
	s_or_b32 s1, vcc_lo, s1
	s_delay_alu instid0(SALU_CYCLE_1)
	s_and_not1_b32 exec_lo, exec_lo, s1
	s_cbranch_execz .LBB1_14
.LBB1_6:                                ; =>This Inner Loop Header: Depth=1
	v_sub_nc_u32_e32 v2, 0, v1
	v_ashrrev_i32_e32 v7, 31, v1
	s_mov_b32 s0, -1
	s_delay_alu instid0(VALU_DEP_2) | instskip(NEXT) | instid1(VALU_DEP_1)
	v_max_i32_e32 v9, v1, v2
	v_mul_hi_u32 v2, v9, v0
	s_delay_alu instid0(VALU_DEP_1) | instskip(SKIP_1) | instid1(VALU_DEP_2)
	v_mul_lo_u32 v5, v2, s6
	v_add_nc_u32_e32 v6, 1, v2
	v_sub_nc_u32_e32 v5, v9, v5
	s_delay_alu instid0(VALU_DEP_1) | instskip(SKIP_1) | instid1(VALU_DEP_4)
	v_subrev_nc_u32_e32 v10, s6, v5
	v_cmp_le_u32_e32 vcc_lo, s6, v5
	v_cndmask_b32_e32 v2, v2, v6, vcc_lo
	s_delay_alu instid0(VALU_DEP_3) | instskip(SKIP_1) | instid1(VALU_DEP_3)
	v_cndmask_b32_e32 v5, v5, v10, vcc_lo
	v_xor_b32_e32 v10, s20, v7
	v_add_nc_u32_e32 v6, 1, v2
	s_delay_alu instid0(VALU_DEP_3) | instskip(NEXT) | instid1(VALU_DEP_2)
	v_cmp_le_u32_e32 vcc_lo, s6, v5
	v_cndmask_b32_e32 v2, v2, v6, vcc_lo
	s_delay_alu instid0(VALU_DEP_1) | instskip(NEXT) | instid1(VALU_DEP_1)
	v_xor_b32_e32 v2, v2, v10
	v_sub_nc_u32_e32 v10, v2, v10
	s_delay_alu instid0(VALU_DEP_1) | instskip(SKIP_1) | instid1(VALU_DEP_2)
	v_mad_u64_u32 v[5:6], null, s23, v10, v[1:2]
	v_mul_lo_u32 v2, v10, s12
	v_ashrrev_i32_e32 v5, 31, v5
	s_delay_alu instid0(VALU_DEP_1) | instskip(NEXT) | instid1(VALU_DEP_1)
	v_sub_nc_u32_e32 v2, v5, v2
	v_add_nc_u32_e32 v2, v1, v2
	s_delay_alu instid0(VALU_DEP_1) | instskip(SKIP_1) | instid1(VALU_DEP_2)
	v_xor_b32_e32 v2, v2, v5
	v_xor_b32_e32 v5, s21, v5
	v_mul_hi_u32 v6, v2, v8
	s_delay_alu instid0(VALU_DEP_1) | instskip(NEXT) | instid1(VALU_DEP_1)
	v_mul_lo_u32 v11, v6, s16
	v_sub_nc_u32_e32 v2, v2, v11
	s_delay_alu instid0(VALU_DEP_1) | instskip(SKIP_1) | instid1(VALU_DEP_2)
	v_subrev_nc_u32_e32 v12, s16, v2
	v_cmp_le_u32_e32 vcc_lo, s16, v2
	v_dual_cndmask_b32 v2, v2, v12 :: v_dual_add_nc_u32 v11, 1, v6
	s_delay_alu instid0(VALU_DEP_1) | instskip(NEXT) | instid1(VALU_DEP_2)
	v_cndmask_b32_e32 v6, v6, v11, vcc_lo
	v_cmp_le_u32_e32 vcc_lo, s16, v2
	s_delay_alu instid0(VALU_DEP_2) | instskip(NEXT) | instid1(VALU_DEP_1)
	v_add_nc_u32_e32 v11, 1, v6
	v_cndmask_b32_e32 v2, v6, v11, vcc_lo
	s_and_b32 vcc_lo, exec_lo, s3
	s_delay_alu instid0(VALU_DEP_1) | instskip(NEXT) | instid1(VALU_DEP_1)
	v_xor_b32_e32 v2, v2, v5
	v_sub_nc_u32_e32 v2, v2, v5
	s_delay_alu instid0(VALU_DEP_1) | instskip(NEXT) | instid1(VALU_DEP_1)
	v_cvt_f32_i32_e32 v5, v2
	v_add_f32_e32 v6, 0.5, v5
	s_delay_alu instid0(VALU_DEP_1) | instskip(NEXT) | instid1(VALU_DEP_1)
	v_cndmask_b32_e64 v5, v5, v6, s2
	v_mul_f32_e32 v11, s10, v5
                                        ; implicit-def: $vgpr5_vgpr6
	s_cbranch_vccz .LBB1_8
; %bb.7:                                ;   in Loop: Header=BB1_6 Depth=1
	s_delay_alu instid0(VALU_DEP_1)
	v_cvt_i32_f32_e32 v5, v11
	s_mov_b32 s0, 0
.LBB1_8:                                ;   in Loop: Header=BB1_6 Depth=1
	s_delay_alu instid0(SALU_CYCLE_1)
	s_and_not1_b32 vcc_lo, exec_lo, s0
	s_cbranch_vccnz .LBB1_10
; %bb.9:                                ;   in Loop: Header=BB1_6 Depth=1
	s_delay_alu instid0(VALU_DEP_1) | instskip(NEXT) | instid1(VALU_DEP_1)
	v_trunc_f32_e32 v5, v11
	v_sub_f32_e32 v6, v11, v5
	s_delay_alu instid0(VALU_DEP_1) | instskip(NEXT) | instid1(VALU_DEP_1)
	v_cmp_ge_f32_e64 s0, |v6|, 0.5
	v_cndmask_b32_e64 v6, 0, 1.0, s0
	s_delay_alu instid0(VALU_DEP_1) | instskip(NEXT) | instid1(VALU_DEP_1)
	v_bfi_b32 v6, 0x7fffffff, v6, v11
	v_add_f32_e32 v5, v5, v6
	s_delay_alu instid0(VALU_DEP_1) | instskip(NEXT) | instid1(VALU_DEP_1)
	v_trunc_f32_e32 v5, v5
	v_mul_f32_e64 v6, 0x2f800000, |v5|
	s_delay_alu instid0(VALU_DEP_1) | instskip(NEXT) | instid1(VALU_DEP_1)
	v_floor_f32_e32 v6, v6
	v_fma_f32 v6, 0xcf800000, v6, |v5|
	v_ashrrev_i32_e32 v5, 31, v5
	s_delay_alu instid0(VALU_DEP_2) | instskip(NEXT) | instid1(VALU_DEP_1)
	v_cvt_u32_f32_e32 v6, v6
	v_xor_b32_e32 v6, v6, v5
	s_delay_alu instid0(VALU_DEP_1)
	v_sub_co_u32 v5, vcc_lo, v6, v5
.LBB1_10:                               ;   in Loop: Header=BB1_6 Depth=1
	v_mul_hi_u32 v6, v9, v8
	s_delay_alu instid0(VALU_DEP_1) | instskip(NEXT) | instid1(VALU_DEP_1)
	v_mul_lo_u32 v6, v6, s16
	v_sub_nc_u32_e32 v6, v9, v6
	s_delay_alu instid0(VALU_DEP_1) | instskip(SKIP_1) | instid1(VALU_DEP_2)
	v_subrev_nc_u32_e32 v9, s16, v6
	v_cmp_le_u32_e32 vcc_lo, s16, v6
	v_cndmask_b32_e32 v6, v6, v9, vcc_lo
	s_delay_alu instid0(VALU_DEP_1) | instskip(SKIP_1) | instid1(VALU_DEP_2)
	v_subrev_nc_u32_e32 v9, s16, v6
	v_cmp_le_u32_e32 vcc_lo, s16, v6
	v_cndmask_b32_e32 v6, v6, v9, vcc_lo
	s_and_b32 vcc_lo, exec_lo, s3
	s_delay_alu instid0(VALU_DEP_1) | instskip(NEXT) | instid1(VALU_DEP_1)
	v_xor_b32_e32 v6, v6, v7
	v_sub_nc_u32_e32 v9, v6, v7
	s_delay_alu instid0(VALU_DEP_1) | instskip(NEXT) | instid1(VALU_DEP_1)
	v_cvt_f32_i32_e32 v6, v9
	v_add_f32_e32 v7, 0.5, v6
	s_delay_alu instid0(VALU_DEP_1) | instskip(NEXT) | instid1(VALU_DEP_1)
	v_cndmask_b32_e64 v6, v6, v7, s2
	v_mul_f32_e32 v11, s11, v6
	s_cbranch_vccz .LBB1_12
; %bb.11:                               ;   in Loop: Header=BB1_6 Depth=1
	s_delay_alu instid0(VALU_DEP_1)
	v_cvt_i32_f32_e32 v6, v11
	s_cbranch_execnz .LBB1_5
	s_branch .LBB1_13
.LBB1_12:                               ;   in Loop: Header=BB1_6 Depth=1
                                        ; implicit-def: $vgpr6_vgpr7
.LBB1_13:                               ;   in Loop: Header=BB1_6 Depth=1
	s_delay_alu instid0(VALU_DEP_1) | instskip(NEXT) | instid1(VALU_DEP_1)
	v_trunc_f32_e32 v6, v11
	v_sub_f32_e32 v7, v11, v6
	s_delay_alu instid0(VALU_DEP_1) | instskip(NEXT) | instid1(VALU_DEP_1)
	v_cmp_ge_f32_e64 s0, |v7|, 0.5
	v_cndmask_b32_e64 v7, 0, 1.0, s0
	s_delay_alu instid0(VALU_DEP_1) | instskip(NEXT) | instid1(VALU_DEP_1)
	v_bfi_b32 v7, 0x7fffffff, v7, v11
	v_add_f32_e32 v6, v6, v7
	s_delay_alu instid0(VALU_DEP_1) | instskip(NEXT) | instid1(VALU_DEP_1)
	v_trunc_f32_e32 v6, v6
	v_mul_f32_e64 v7, 0x2f800000, |v6|
	s_delay_alu instid0(VALU_DEP_1) | instskip(NEXT) | instid1(VALU_DEP_1)
	v_floor_f32_e32 v7, v7
	v_fma_f32 v7, 0xcf800000, v7, |v6|
	v_ashrrev_i32_e32 v6, 31, v6
	s_delay_alu instid0(VALU_DEP_2) | instskip(NEXT) | instid1(VALU_DEP_1)
	v_cvt_u32_f32_e32 v7, v7
	v_xor_b32_e32 v7, v7, v6
	s_delay_alu instid0(VALU_DEP_1)
	v_sub_co_u32 v6, vcc_lo, v7, v6
	s_branch .LBB1_5
.LBB1_14:
	s_nop 0
	s_sendmsg sendmsg(MSG_DEALLOC_VGPRS)
	s_endpgm
.LBB1_15:
                                        ; implicit-def: $vgpr1_vgpr2
	s_branch .LBB1_2
	.section	.rodata,"a",@progbits
	.p2align	6, 0x0
	.amdhsa_kernel _Z6resizeIhLm8EEvPT_miiPKS0_iiffbb
		.amdhsa_group_segment_fixed_size 0
		.amdhsa_private_segment_fixed_size 0
		.amdhsa_kernarg_size 312
		.amdhsa_user_sgpr_count 15
		.amdhsa_user_sgpr_dispatch_ptr 0
		.amdhsa_user_sgpr_queue_ptr 0
		.amdhsa_user_sgpr_kernarg_segment_ptr 1
		.amdhsa_user_sgpr_dispatch_id 0
		.amdhsa_user_sgpr_private_segment_size 0
		.amdhsa_wavefront_size32 1
		.amdhsa_uses_dynamic_stack 0
		.amdhsa_enable_private_segment 0
		.amdhsa_system_sgpr_workgroup_id_x 1
		.amdhsa_system_sgpr_workgroup_id_y 0
		.amdhsa_system_sgpr_workgroup_id_z 0
		.amdhsa_system_sgpr_workgroup_info 0
		.amdhsa_system_vgpr_workitem_id 0
		.amdhsa_next_free_vgpr 23
		.amdhsa_next_free_sgpr 24
		.amdhsa_reserve_vcc 1
		.amdhsa_float_round_mode_32 0
		.amdhsa_float_round_mode_16_64 0
		.amdhsa_float_denorm_mode_32 3
		.amdhsa_float_denorm_mode_16_64 3
		.amdhsa_dx10_clamp 1
		.amdhsa_ieee_mode 1
		.amdhsa_fp16_overflow 0
		.amdhsa_workgroup_processor_mode 1
		.amdhsa_memory_ordered 1
		.amdhsa_forward_progress 0
		.amdhsa_shared_vgpr_count 0
		.amdhsa_exception_fp_ieee_invalid_op 0
		.amdhsa_exception_fp_denorm_src 0
		.amdhsa_exception_fp_ieee_div_zero 0
		.amdhsa_exception_fp_ieee_overflow 0
		.amdhsa_exception_fp_ieee_underflow 0
		.amdhsa_exception_fp_ieee_inexact 0
		.amdhsa_exception_int_div_zero 0
	.end_amdhsa_kernel
	.section	.text._Z6resizeIhLm8EEvPT_miiPKS0_iiffbb,"axG",@progbits,_Z6resizeIhLm8EEvPT_miiPKS0_iiffbb,comdat
.Lfunc_end1:
	.size	_Z6resizeIhLm8EEvPT_miiPKS0_iiffbb, .Lfunc_end1-_Z6resizeIhLm8EEvPT_miiPKS0_iiffbb
                                        ; -- End function
	.section	.AMDGPU.csdata,"",@progbits
; Kernel info:
; codeLenInByte = 2292
; NumSgprs: 26
; NumVgprs: 23
; ScratchSize: 0
; MemoryBound: 0
; FloatMode: 240
; IeeeMode: 1
; LDSByteSize: 0 bytes/workgroup (compile time only)
; SGPRBlocks: 3
; VGPRBlocks: 2
; NumSGPRsForWavesPerEU: 26
; NumVGPRsForWavesPerEU: 23
; Occupancy: 16
; WaveLimiterHint : 0
; COMPUTE_PGM_RSRC2:SCRATCH_EN: 0
; COMPUTE_PGM_RSRC2:USER_SGPR: 15
; COMPUTE_PGM_RSRC2:TRAP_HANDLER: 0
; COMPUTE_PGM_RSRC2:TGID_X_EN: 1
; COMPUTE_PGM_RSRC2:TGID_Y_EN: 0
; COMPUTE_PGM_RSRC2:TGID_Z_EN: 0
; COMPUTE_PGM_RSRC2:TIDIG_COMP_CNT: 0
	.section	.text._Z15resize_bilinearItLm8EEvPT_miiPKS0_iiffb,"axG",@progbits,_Z15resize_bilinearItLm8EEvPT_miiPKS0_iiffb,comdat
	.protected	_Z15resize_bilinearItLm8EEvPT_miiPKS0_iiffb ; -- Begin function _Z15resize_bilinearItLm8EEvPT_miiPKS0_iiffb
	.globl	_Z15resize_bilinearItLm8EEvPT_miiPKS0_iiffb
	.p2align	8
	.type	_Z15resize_bilinearItLm8EEvPT_miiPKS0_iiffb,@function
_Z15resize_bilinearItLm8EEvPT_miiPKS0_iiffb: ; @_Z15resize_bilinearItLm8EEvPT_miiPKS0_iiffb
; %bb.0:
	s_load_b128 s[4:7], s[0:1], 0x8
	s_waitcnt lgkmcnt(0)
	s_mul_i32 s12, s7, s6
	s_delay_alu instid0(SALU_CYCLE_1) | instskip(NEXT) | instid1(SALU_CYCLE_1)
	s_ashr_i32 s13, s12, 31
	s_or_b64 s[8:9], s[4:5], s[12:13]
	s_mov_b32 s8, 0
	s_delay_alu instid0(SALU_CYCLE_1)
	s_cmp_lg_u64 s[8:9], 0
	s_cbranch_scc0 .LBB2_18
; %bb.1:
	v_cvt_f32_u32_e32 v1, s12
	v_cvt_f32_u32_e32 v2, s13
	s_sub_u32 s9, 0, s12
	s_subb_u32 s10, 0, s13
	s_delay_alu instid0(VALU_DEP_1) | instskip(NEXT) | instid1(VALU_DEP_1)
	v_fmamk_f32 v1, v2, 0x4f800000, v1
	v_rcp_f32_e32 v1, v1
	s_waitcnt_depctr 0xfff
	v_mul_f32_e32 v1, 0x5f7ffffc, v1
	s_delay_alu instid0(VALU_DEP_1) | instskip(NEXT) | instid1(VALU_DEP_1)
	v_mul_f32_e32 v2, 0x2f800000, v1
	v_trunc_f32_e32 v2, v2
	s_delay_alu instid0(VALU_DEP_1) | instskip(SKIP_1) | instid1(VALU_DEP_2)
	v_fmamk_f32 v1, v2, 0xcf800000, v1
	v_cvt_u32_f32_e32 v2, v2
	v_cvt_u32_f32_e32 v1, v1
	s_delay_alu instid0(VALU_DEP_2) | instskip(NEXT) | instid1(VALU_DEP_2)
	v_readfirstlane_b32 s2, v2
	v_readfirstlane_b32 s3, v1
	s_delay_alu instid0(VALU_DEP_2) | instskip(NEXT) | instid1(VALU_DEP_1)
	s_mul_i32 s11, s9, s2
	s_mul_hi_u32 s16, s9, s3
	s_mul_i32 s14, s10, s3
	s_add_i32 s11, s16, s11
	s_mul_i32 s17, s9, s3
	s_add_i32 s11, s11, s14
	s_mul_hi_u32 s16, s3, s17
	s_mul_hi_u32 s18, s2, s17
	s_mul_i32 s14, s2, s17
	s_mul_hi_u32 s17, s3, s11
	s_mul_i32 s3, s3, s11
	s_mul_hi_u32 s19, s2, s11
	s_add_u32 s3, s16, s3
	s_addc_u32 s16, 0, s17
	s_add_u32 s3, s3, s14
	s_mul_i32 s11, s2, s11
	s_addc_u32 s3, s16, s18
	s_addc_u32 s14, s19, 0
	s_add_u32 s3, s3, s11
	s_addc_u32 s11, 0, s14
	v_add_co_u32 v1, s3, v1, s3
	s_delay_alu instid0(VALU_DEP_1) | instskip(SKIP_1) | instid1(VALU_DEP_1)
	s_cmp_lg_u32 s3, 0
	s_addc_u32 s2, s2, s11
	v_readfirstlane_b32 s3, v1
	s_mul_i32 s11, s9, s2
	s_delay_alu instid0(VALU_DEP_1)
	s_mul_hi_u32 s14, s9, s3
	s_mul_i32 s10, s10, s3
	s_add_i32 s11, s14, s11
	s_mul_i32 s9, s9, s3
	s_add_i32 s11, s11, s10
	s_mul_hi_u32 s14, s2, s9
	s_mul_i32 s16, s2, s9
	s_mul_hi_u32 s9, s3, s9
	s_mul_hi_u32 s17, s3, s11
	s_mul_i32 s3, s3, s11
	s_mul_hi_u32 s10, s2, s11
	s_add_u32 s3, s9, s3
	s_addc_u32 s9, 0, s17
	s_add_u32 s3, s3, s16
	s_mul_i32 s11, s2, s11
	s_addc_u32 s3, s9, s14
	s_addc_u32 s9, s10, 0
	s_add_u32 s3, s3, s11
	s_addc_u32 s9, 0, s9
	v_add_co_u32 v1, s3, v1, s3
	s_delay_alu instid0(VALU_DEP_1) | instskip(SKIP_1) | instid1(VALU_DEP_1)
	s_cmp_lg_u32 s3, 0
	s_addc_u32 s2, s2, s9
	v_readfirstlane_b32 s3, v1
	s_mul_i32 s10, s4, s2
	s_mul_hi_u32 s9, s4, s2
	s_mul_hi_u32 s11, s5, s2
	s_mul_i32 s2, s5, s2
	s_mul_hi_u32 s14, s4, s3
	s_mul_hi_u32 s16, s5, s3
	s_mul_i32 s3, s5, s3
	s_add_u32 s10, s14, s10
	s_addc_u32 s9, 0, s9
	s_add_u32 s3, s10, s3
	s_addc_u32 s3, s9, s16
	s_addc_u32 s9, s11, 0
	s_add_u32 s3, s3, s2
	s_addc_u32 s9, 0, s9
	s_mul_hi_u32 s2, s12, s3
	s_mul_i32 s11, s12, s9
	s_mul_i32 s14, s12, s3
	s_add_i32 s2, s2, s11
	v_sub_co_u32 v1, s11, s4, s14
	s_mul_i32 s10, s13, s3
	s_delay_alu instid0(SALU_CYCLE_1) | instskip(NEXT) | instid1(VALU_DEP_1)
	s_add_i32 s2, s2, s10
	v_sub_co_u32 v2, s14, v1, s12
	s_sub_i32 s10, s5, s2
	s_cmp_lg_u32 s11, 0
	s_subb_u32 s10, s10, s13
	s_cmp_lg_u32 s14, 0
	v_cmp_le_u32_e32 vcc_lo, s12, v2
	s_subb_u32 s10, s10, 0
	s_delay_alu instid0(SALU_CYCLE_1)
	s_cmp_ge_u32 s10, s13
	v_cndmask_b32_e64 v2, 0, -1, vcc_lo
	s_cselect_b32 s14, -1, 0
	s_cmp_eq_u32 s10, s13
	s_cselect_b32 vcc_lo, -1, 0
	s_add_u32 s10, s3, 1
	v_cndmask_b32_e32 v2, s14, v2, vcc_lo
	s_addc_u32 s14, s9, 0
	s_add_u32 s16, s3, 2
	s_addc_u32 s17, s9, 0
	v_mov_b32_e32 v3, s16
	s_cmp_lg_u32 s11, 0
	v_cmp_le_u32_e32 vcc_lo, s12, v1
	s_subb_u32 s2, s5, s2
	s_delay_alu instid0(SALU_CYCLE_1)
	s_cmp_ge_u32 s2, s13
	v_cndmask_b32_e64 v1, 0, -1, vcc_lo
	s_cselect_b32 s5, -1, 0
	s_cmp_eq_u32 s2, s13
	v_cmp_ne_u32_e32 vcc_lo, 0, v2
	s_cselect_b32 s2, -1, 0
	v_mov_b32_e32 v2, s17
	v_cndmask_b32_e64 v1, s5, v1, s2
	v_cndmask_b32_e32 v3, s10, v3, vcc_lo
	s_delay_alu instid0(VALU_DEP_3) | instskip(NEXT) | instid1(VALU_DEP_3)
	v_cndmask_b32_e32 v2, s14, v2, vcc_lo
	v_cmp_ne_u32_e32 vcc_lo, 0, v1
	s_delay_alu instid0(VALU_DEP_2) | instskip(NEXT) | instid1(VALU_DEP_4)
	v_cndmask_b32_e32 v2, s9, v2, vcc_lo
	v_cndmask_b32_e32 v1, s3, v3, vcc_lo
	s_and_not1_b32 vcc_lo, exec_lo, s8
	s_cbranch_vccnz .LBB2_3
.LBB2_2:
	v_cvt_f32_u32_e32 v1, s12
	s_sub_i32 s3, 0, s12
	s_delay_alu instid0(VALU_DEP_1) | instskip(SKIP_2) | instid1(VALU_DEP_1)
	v_rcp_iflag_f32_e32 v1, v1
	s_waitcnt_depctr 0xfff
	v_mul_f32_e32 v1, 0x4f7ffffe, v1
	v_cvt_u32_f32_e32 v1, v1
	s_delay_alu instid0(VALU_DEP_1) | instskip(NEXT) | instid1(VALU_DEP_1)
	v_readfirstlane_b32 s2, v1
	s_mul_i32 s3, s3, s2
	s_delay_alu instid0(SALU_CYCLE_1) | instskip(NEXT) | instid1(SALU_CYCLE_1)
	s_mul_hi_u32 s3, s2, s3
	s_add_i32 s2, s2, s3
	s_delay_alu instid0(SALU_CYCLE_1) | instskip(NEXT) | instid1(SALU_CYCLE_1)
	s_mul_hi_u32 s2, s4, s2
	s_mul_i32 s3, s2, s12
	s_delay_alu instid0(SALU_CYCLE_1)
	s_sub_i32 s3, s4, s3
	s_add_i32 s4, s2, 1
	s_sub_i32 s5, s3, s12
	s_cmp_ge_u32 s3, s12
	s_cselect_b32 s2, s4, s2
	s_cselect_b32 s3, s5, s3
	s_add_i32 s4, s2, 1
	s_cmp_ge_u32 s3, s12
	s_mov_b32 s3, 0
	s_cselect_b32 s2, s4, s2
	s_delay_alu instid0(SALU_CYCLE_1)
	v_dual_mov_b32 v1, s2 :: v_dual_mov_b32 v2, s3
.LBB2_3:
	s_load_b32 s4, s[0:1], 0x44
	s_delay_alu instid0(VALU_DEP_1) | instskip(SKIP_3) | instid1(VALU_DEP_2)
	v_alignbit_b32 v3, v2, v1, 3
	v_lshrrev_b32_e32 v1, 3, v2
	s_add_u32 s2, s0, 56
	s_addc_u32 s3, s1, 0
	v_mul_lo_u32 v4, v3, s13
	v_mul_hi_u32 v5, v3, s12
	v_mul_lo_u32 v6, v1, s12
	v_mul_lo_u32 v3, v3, s12
	s_waitcnt lgkmcnt(0)
	s_and_b32 s16, s4, 0xffff
	s_mov_b32 s4, exec_lo
	v_mad_u64_u32 v[1:2], null, s15, s16, v[0:1]
	s_delay_alu instid0(VALU_DEP_4) | instskip(NEXT) | instid1(VALU_DEP_1)
	v_add_nc_u32_e32 v0, v5, v4
	v_add_nc_u32_e32 v4, v0, v6
	s_delay_alu instid0(VALU_DEP_3) | instskip(NEXT) | instid1(VALU_DEP_1)
	v_ashrrev_i32_e32 v2, 31, v1
	v_cmpx_gt_u64_e64 v[3:4], v[1:2]
	s_cbranch_execz .LBB2_17
; %bb.4:
	s_clause 0x1
	s_load_b32 s4, s[0:1], 0x30
	s_load_b128 s[8:11], s[0:1], 0x20
	s_load_b32 s26, s[2:3], 0x0
	s_waitcnt lgkmcnt(0)
	s_mul_i32 s14, s9, s8
	s_bitcmp1_b32 s4, 0
	s_mul_i32 s26, s26, s16
	s_cselect_b32 s17, -1, 0
	s_abs_i32 s24, s12
	s_abs_i32 s25, s7
	v_cvt_f32_u32_e32 v0, s24
	v_cvt_f32_u32_e32 v2, s25
	s_sub_i32 s2, 0, s24
	s_sub_i32 s3, 0, s25
	s_add_i32 s16, s9, -1
	v_rcp_iflag_f32_e32 v0, v0
	v_rcp_iflag_f32_e32 v2, v2
	s_ashr_i32 s15, s14, 31
	s_add_i32 s8, s8, -1
	s_ashr_i32 s27, s12, 31
	s_ashr_i32 s28, s7, 31
	s_xor_b32 s29, s17, -1
	s_lshl_b64 s[18:19], s[14:15], 1
	s_ashr_i32 s17, s16, 31
	s_lshl_b64 s[20:21], s[12:13], 1
	s_waitcnt_depctr 0xfff
	v_mul_f32_e32 v0, 0x4f7ffffe, v0
	s_delay_alu instid0(VALU_DEP_1) | instskip(NEXT) | instid1(VALU_DEP_1)
	v_cvt_u32_f32_e32 v0, v0
	v_mul_lo_u32 v5, s2, v0
	s_delay_alu instid0(VALU_DEP_1) | instskip(NEXT) | instid1(VALU_DEP_1)
	v_mul_hi_u32 v5, v0, v5
	v_dual_mul_f32 v2, 0x4f7ffffe, v2 :: v_dual_add_nc_u32 v7, v0, v5
	s_delay_alu instid0(VALU_DEP_1) | instskip(NEXT) | instid1(VALU_DEP_1)
	v_cvt_u32_f32_e32 v2, v2
	v_mul_lo_u32 v6, s3, v2
	s_clause 0x1
	s_load_b64 s[2:3], s[0:1], 0x0
	s_load_b64 s[4:5], s[0:1], 0x18
	s_mov_b32 s1, 0
	s_delay_alu instid0(VALU_DEP_1) | instskip(NEXT) | instid1(VALU_DEP_1)
	v_mul_hi_u32 v6, v2, v6
	v_add_nc_u32_e32 v8, v2, v6
	s_branch .LBB2_6
.LBB2_5:                                ;   in Loop: Header=BB2_6 Depth=1
	s_or_b32 exec_lo, exec_lo, s13
	v_add_nc_u32_e32 v1, s26, v1
	s_delay_alu instid0(VALU_DEP_1) | instskip(NEXT) | instid1(VALU_DEP_1)
	v_ashrrev_i32_e32 v2, 31, v1
	v_cmp_le_u64_e32 vcc_lo, v[3:4], v[1:2]
	s_or_b32 s1, vcc_lo, s1
	s_delay_alu instid0(SALU_CYCLE_1)
	s_and_not1_b32 exec_lo, exec_lo, s1
	s_cbranch_execz .LBB2_17
.LBB2_6:                                ; =>This Loop Header: Depth=1
                                        ;     Child Loop BB2_16 Depth 2
	v_sub_nc_u32_e32 v0, 0, v1
	s_mov_b32 s0, -1
	s_delay_alu instid0(VALU_DEP_1) | instskip(NEXT) | instid1(VALU_DEP_1)
	v_max_i32_e32 v2, v1, v0
	v_mul_hi_u32 v0, v2, v8
	s_delay_alu instid0(VALU_DEP_1) | instskip(NEXT) | instid1(VALU_DEP_1)
	v_mul_lo_u32 v0, v0, s25
	v_sub_nc_u32_e32 v0, v2, v0
	s_delay_alu instid0(VALU_DEP_1) | instskip(SKIP_1) | instid1(VALU_DEP_2)
	v_subrev_nc_u32_e32 v5, s25, v0
	v_cmp_le_u32_e32 vcc_lo, s25, v0
	v_cndmask_b32_e32 v0, v0, v5, vcc_lo
	v_ashrrev_i32_e32 v5, 31, v1
	s_delay_alu instid0(VALU_DEP_2) | instskip(SKIP_1) | instid1(VALU_DEP_2)
	v_subrev_nc_u32_e32 v6, s25, v0
	v_cmp_le_u32_e32 vcc_lo, s25, v0
	v_cndmask_b32_e32 v0, v0, v6, vcc_lo
	s_and_b32 vcc_lo, exec_lo, s29
	s_delay_alu instid0(VALU_DEP_1) | instskip(NEXT) | instid1(VALU_DEP_1)
	v_xor_b32_e32 v0, v0, v5
	v_sub_nc_u32_e32 v6, v0, v5
	s_delay_alu instid0(VALU_DEP_1)
	v_cvt_f32_i32_e32 v9, v6
                                        ; implicit-def: $vgpr6
	s_cbranch_vccz .LBB2_8
; %bb.7:                                ;   in Loop: Header=BB2_6 Depth=1
	s_delay_alu instid0(VALU_DEP_1)
	v_mul_f32_e32 v6, s11, v9
	s_mov_b32 s0, 0
.LBB2_8:                                ;   in Loop: Header=BB2_6 Depth=1
	s_delay_alu instid0(SALU_CYCLE_1)
	s_and_not1_b32 vcc_lo, exec_lo, s0
	s_cbranch_vccnz .LBB2_10
; %bb.9:                                ;   in Loop: Header=BB2_6 Depth=1
	s_delay_alu instid0(VALU_DEP_1) | instskip(NEXT) | instid1(VALU_DEP_1)
	v_add_f32_e32 v6, 0.5, v9
	v_fma_f32 v6, v6, s11, -0.5
	s_delay_alu instid0(VALU_DEP_1)
	v_max_f32_e32 v6, 0, v6
.LBB2_10:                               ;   in Loop: Header=BB2_6 Depth=1
	v_mul_hi_u32 v9, v2, v7
	s_delay_alu instid0(VALU_DEP_1) | instskip(NEXT) | instid1(VALU_DEP_1)
	v_mul_lo_u32 v10, v9, s24
	v_sub_nc_u32_e32 v2, v2, v10
	v_add_nc_u32_e32 v10, 1, v9
	s_delay_alu instid0(VALU_DEP_2) | instskip(SKIP_1) | instid1(VALU_DEP_2)
	v_subrev_nc_u32_e32 v11, s24, v2
	v_cmp_le_u32_e32 vcc_lo, s24, v2
	v_dual_cndmask_b32 v9, v9, v10 :: v_dual_cndmask_b32 v2, v2, v11
	v_xor_b32_e32 v11, s27, v5
	s_delay_alu instid0(VALU_DEP_2) | instskip(NEXT) | instid1(VALU_DEP_3)
	v_add_nc_u32_e32 v10, 1, v9
	v_cmp_le_u32_e32 vcc_lo, s24, v2
	s_delay_alu instid0(VALU_DEP_2) | instskip(NEXT) | instid1(VALU_DEP_1)
	v_cndmask_b32_e32 v2, v9, v10, vcc_lo
	v_xor_b32_e32 v2, v2, v11
	s_delay_alu instid0(VALU_DEP_1) | instskip(NEXT) | instid1(VALU_DEP_1)
	v_sub_nc_u32_e32 v9, v2, v11
	v_mul_lo_u32 v2, v9, s12
	s_delay_alu instid0(VALU_DEP_1) | instskip(NEXT) | instid1(VALU_DEP_1)
	v_sub_nc_u32_e32 v2, v1, v2
	v_sub_nc_u32_e32 v10, 0, v2
	s_delay_alu instid0(VALU_DEP_1) | instskip(SKIP_1) | instid1(VALU_DEP_2)
	v_max_i32_e32 v10, v2, v10
	v_ashrrev_i32_e32 v2, 31, v2
	v_mul_hi_u32 v11, v10, v8
	s_delay_alu instid0(VALU_DEP_1) | instskip(NEXT) | instid1(VALU_DEP_1)
	v_mul_lo_u32 v12, v11, s25
	v_sub_nc_u32_e32 v10, v10, v12
	v_add_nc_u32_e32 v12, 1, v11
	s_delay_alu instid0(VALU_DEP_2) | instskip(SKIP_1) | instid1(VALU_DEP_2)
	v_subrev_nc_u32_e32 v13, s25, v10
	v_cmp_le_u32_e32 vcc_lo, s25, v10
	v_dual_cndmask_b32 v11, v11, v12 :: v_dual_cndmask_b32 v10, v10, v13
	v_xor_b32_e32 v12, s28, v2
	s_delay_alu instid0(VALU_DEP_2) | instskip(NEXT) | instid1(VALU_DEP_3)
	v_add_nc_u32_e32 v13, 1, v11
	v_cmp_le_u32_e32 vcc_lo, s25, v10
	s_delay_alu instid0(VALU_DEP_2) | instskip(SKIP_1) | instid1(VALU_DEP_1)
	v_cndmask_b32_e32 v2, v11, v13, vcc_lo
	s_and_b32 vcc_lo, exec_lo, s29
	v_xor_b32_e32 v2, v2, v12
	s_delay_alu instid0(VALU_DEP_1) | instskip(NEXT) | instid1(VALU_DEP_1)
	v_sub_nc_u32_e32 v10, v2, v12
	v_cvt_f32_i32_e32 v10, v10
	s_cbranch_vccz .LBB2_12
; %bb.11:                               ;   in Loop: Header=BB2_6 Depth=1
	s_delay_alu instid0(VALU_DEP_1)
	v_mul_f32_e32 v11, s10, v10
	s_cbranch_execz .LBB2_13
	s_branch .LBB2_14
.LBB2_12:                               ;   in Loop: Header=BB2_6 Depth=1
                                        ; implicit-def: $vgpr11
.LBB2_13:                               ;   in Loop: Header=BB2_6 Depth=1
	s_delay_alu instid0(VALU_DEP_1) | instskip(NEXT) | instid1(VALU_DEP_1)
	v_add_f32_e32 v10, 0.5, v10
	v_fma_f32 v10, v10, s10, -0.5
	s_delay_alu instid0(VALU_DEP_1)
	v_max_f32_e32 v11, 0, v10
.LBB2_14:                               ;   in Loop: Header=BB2_6 Depth=1
	v_lshlrev_b32_e32 v9, 3, v9
	s_mov_b32 s13, exec_lo
	s_delay_alu instid0(VALU_DEP_1)
	v_cmpx_ne_u32_e32 0x7ffffff8, v9
	s_cbranch_execz .LBB2_5
; %bb.15:                               ;   in Loop: Header=BB2_6 Depth=1
	v_cvt_i32_f32_e32 v15, v11
	v_cvt_i32_f32_e32 v20, v6
	v_mul_lo_u32 v13, v9, s14
	s_mov_b64 s[22:23], 0
	s_mov_b32 s15, 0
	v_add_nc_u32_e32 v16, 1, v15
	v_add_nc_u32_e32 v14, 1, v20
	v_min_i32_e32 v18, s8, v15
	v_cvt_f32_i32_e32 v19, v20
	v_cvt_f32_i32_e32 v15, v15
	v_add_nc_u32_e32 v10, 8, v9
	v_min_i32_e32 v21, s8, v16
	v_mad_u64_u32 v[16:17], null, v18, s9, v[13:14]
	v_sub_f32_e32 v6, v6, v19
	v_sub_f32_e32 v19, v11, v15
	v_ashrrev_i32_e32 v15, 31, v14
	v_mad_u64_u32 v[17:18], null, v21, s9, v[13:14]
	v_ashrrev_i32_e32 v21, 31, v20
	v_ashrrev_i32_e32 v22, 31, v16
	s_delay_alu instid0(VALU_DEP_4)
	v_cmp_lt_i64_e32 vcc_lo, s[16:17], v[14:15]
	v_add_co_u32 v18, s0, v20, v16
	v_cvt_u32_f32_e32 v11, v6
	v_cvt_u32_f32_e32 v6, v19
	v_add_co_ci_u32_e64 v19, s0, v21, v22, s0
	v_cndmask_b32_e64 v25, v14, s16, vcc_lo
	v_mad_u64_u32 v[13:14], null, s6, v9, v[2:3]
	v_cndmask_b32_e64 v24, v15, s17, vcc_lo
	s_delay_alu instid0(VALU_DEP_4) | instskip(NEXT) | instid1(VALU_DEP_4)
	v_lshlrev_b64 v[14:15], 1, v[18:19]
	v_add_co_u32 v18, vcc_lo, v25, v16
	v_perm_b32 v2, v6, v11, 0x5040100
	v_ashrrev_i32_e32 v6, 31, v17
	v_sub_nc_u32_e32 v12, v13, v12
	v_add_co_ci_u32_e32 v19, vcc_lo, v24, v22, vcc_lo
	v_add_co_u32 v20, vcc_lo, v20, v17
	s_delay_alu instid0(VALU_DEP_3)
	v_mad_u64_u32 v[22:23], null, s7, v12, v[0:1]
	v_add_co_ci_u32_e32 v21, vcc_lo, v21, v6, vcc_lo
	s_waitcnt lgkmcnt(0)
	v_add_co_u32 v0, vcc_lo, s4, v14
	v_add_co_ci_u32_e32 v12, vcc_lo, s5, v15, vcc_lo
	v_add_co_u32 v17, vcc_lo, v25, v17
	v_sub_nc_u32_e32 v5, v22, v5
	v_lshlrev_b64 v[13:14], 1, v[18:19]
	v_add_co_ci_u32_e32 v18, vcc_lo, v24, v6, vcc_lo
	v_lshlrev_b64 v[15:16], 1, v[20:21]
	s_delay_alu instid0(VALU_DEP_4) | instskip(NEXT) | instid1(VALU_DEP_4)
	v_ashrrev_i32_e32 v6, 31, v5
	v_add_co_u32 v13, vcc_lo, s4, v13
	s_delay_alu instid0(VALU_DEP_4)
	v_lshlrev_b64 v[17:18], 1, v[17:18]
	v_add_co_ci_u32_e32 v14, vcc_lo, s5, v14, vcc_lo
	v_add_co_u32 v15, vcc_lo, s4, v15
	v_lshlrev_b64 v[5:6], 1, v[5:6]
	v_add_co_ci_u32_e32 v16, vcc_lo, s5, v16, vcc_lo
	v_add_co_u32 v17, vcc_lo, s4, v17
	v_add_co_ci_u32_e32 v18, vcc_lo, s5, v18, vcc_lo
	s_delay_alu instid0(VALU_DEP_4)
	v_add_co_u32 v5, vcc_lo, s2, v5
	v_add_co_ci_u32_e32 v6, vcc_lo, s3, v6, vcc_lo
.LBB2_16:                               ;   Parent Loop BB2_6 Depth=1
                                        ; =>  This Inner Loop Header: Depth=2
	v_add_co_u32 v19, vcc_lo, v13, s22
	v_add_co_ci_u32_e32 v20, vcc_lo, s23, v14, vcc_lo
	v_add_co_u32 v21, vcc_lo, v15, s22
	v_add_co_ci_u32_e32 v22, vcc_lo, s23, v16, vcc_lo
	;; [unrolled: 2-line block ×3, first 2 shown]
	s_clause 0x2
	global_load_u16 v19, v[19:20], off
	global_load_u16 v20, v[21:22], off
	global_load_u16 v21, v[23:24], off
	v_add_co_u32 v25, vcc_lo, v17, s22
	v_add_co_ci_u32_e32 v26, vcc_lo, s23, v18, vcc_lo
	v_add_nc_u32_e32 v9, 1, v9
	s_add_u32 s22, s22, s18
	s_addc_u32 s23, s23, s19
	global_load_u16 v22, v[25:26], off
	v_cmp_ge_i32_e32 vcc_lo, v9, v10
	s_or_b32 s15, vcc_lo, s15
	s_waitcnt vmcnt(2)
	v_add_nc_u16 v23, v19, v20
	s_waitcnt vmcnt(1)
	v_sub_nc_u16 v20, v20, v21
	v_sub_nc_u16 v19, v19, v21
	s_delay_alu instid0(VALU_DEP_3) | instskip(SKIP_1) | instid1(VALU_DEP_1)
	v_sub_nc_u16 v23, v21, v23
	s_waitcnt vmcnt(0)
	v_add_nc_u16 v22, v23, v22
	s_delay_alu instid0(VALU_DEP_1) | instskip(NEXT) | instid1(VALU_DEP_1)
	v_mad_u16 v20, v22, v11, v20
	v_perm_b32 v19, v20, v19, 0x5040100
	s_delay_alu instid0(VALU_DEP_1) | instskip(NEXT) | instid1(VALU_DEP_1)
	v_pk_mul_lo_u16 v19, v19, v2
	v_add_nc_u16 v20, v19, v21
	v_lshrrev_b32_e32 v19, 16, v19
	s_delay_alu instid0(VALU_DEP_1) | instskip(SKIP_2) | instid1(VALU_DEP_1)
	v_add_nc_u16 v19, v20, v19
	global_store_b16 v[5:6], v19, off
	v_add_co_u32 v5, s0, v5, s20
	v_add_co_ci_u32_e64 v6, s0, s21, v6, s0
	s_and_not1_b32 exec_lo, exec_lo, s15
	s_cbranch_execnz .LBB2_16
	s_branch .LBB2_5
.LBB2_17:
	s_nop 0
	s_sendmsg sendmsg(MSG_DEALLOC_VGPRS)
	s_endpgm
.LBB2_18:
                                        ; implicit-def: $vgpr1_vgpr2
	s_branch .LBB2_2
	.section	.rodata,"a",@progbits
	.p2align	6, 0x0
	.amdhsa_kernel _Z15resize_bilinearItLm8EEvPT_miiPKS0_iiffb
		.amdhsa_group_segment_fixed_size 0
		.amdhsa_private_segment_fixed_size 0
		.amdhsa_kernarg_size 312
		.amdhsa_user_sgpr_count 15
		.amdhsa_user_sgpr_dispatch_ptr 0
		.amdhsa_user_sgpr_queue_ptr 0
		.amdhsa_user_sgpr_kernarg_segment_ptr 1
		.amdhsa_user_sgpr_dispatch_id 0
		.amdhsa_user_sgpr_private_segment_size 0
		.amdhsa_wavefront_size32 1
		.amdhsa_uses_dynamic_stack 0
		.amdhsa_enable_private_segment 0
		.amdhsa_system_sgpr_workgroup_id_x 1
		.amdhsa_system_sgpr_workgroup_id_y 0
		.amdhsa_system_sgpr_workgroup_id_z 0
		.amdhsa_system_sgpr_workgroup_info 0
		.amdhsa_system_vgpr_workitem_id 0
		.amdhsa_next_free_vgpr 27
		.amdhsa_next_free_sgpr 30
		.amdhsa_reserve_vcc 1
		.amdhsa_float_round_mode_32 0
		.amdhsa_float_round_mode_16_64 0
		.amdhsa_float_denorm_mode_32 3
		.amdhsa_float_denorm_mode_16_64 3
		.amdhsa_dx10_clamp 1
		.amdhsa_ieee_mode 1
		.amdhsa_fp16_overflow 0
		.amdhsa_workgroup_processor_mode 1
		.amdhsa_memory_ordered 1
		.amdhsa_forward_progress 0
		.amdhsa_shared_vgpr_count 0
		.amdhsa_exception_fp_ieee_invalid_op 0
		.amdhsa_exception_fp_denorm_src 0
		.amdhsa_exception_fp_ieee_div_zero 0
		.amdhsa_exception_fp_ieee_overflow 0
		.amdhsa_exception_fp_ieee_underflow 0
		.amdhsa_exception_fp_ieee_inexact 0
		.amdhsa_exception_int_div_zero 0
	.end_amdhsa_kernel
	.section	.text._Z15resize_bilinearItLm8EEvPT_miiPKS0_iiffb,"axG",@progbits,_Z15resize_bilinearItLm8EEvPT_miiPKS0_iiffb,comdat
.Lfunc_end2:
	.size	_Z15resize_bilinearItLm8EEvPT_miiPKS0_iiffb, .Lfunc_end2-_Z15resize_bilinearItLm8EEvPT_miiPKS0_iiffb
                                        ; -- End function
	.section	.AMDGPU.csdata,"",@progbits
; Kernel info:
; codeLenInByte = 2168
; NumSgprs: 32
; NumVgprs: 27
; ScratchSize: 0
; MemoryBound: 0
; FloatMode: 240
; IeeeMode: 1
; LDSByteSize: 0 bytes/workgroup (compile time only)
; SGPRBlocks: 3
; VGPRBlocks: 3
; NumSGPRsForWavesPerEU: 32
; NumVGPRsForWavesPerEU: 27
; Occupancy: 16
; WaveLimiterHint : 0
; COMPUTE_PGM_RSRC2:SCRATCH_EN: 0
; COMPUTE_PGM_RSRC2:USER_SGPR: 15
; COMPUTE_PGM_RSRC2:TRAP_HANDLER: 0
; COMPUTE_PGM_RSRC2:TGID_X_EN: 1
; COMPUTE_PGM_RSRC2:TGID_Y_EN: 0
; COMPUTE_PGM_RSRC2:TGID_Z_EN: 0
; COMPUTE_PGM_RSRC2:TIDIG_COMP_CNT: 0
	.section	.text._Z6resizeItLm8EEvPT_miiPKS0_iiffbb,"axG",@progbits,_Z6resizeItLm8EEvPT_miiPKS0_iiffbb,comdat
	.protected	_Z6resizeItLm8EEvPT_miiPKS0_iiffbb ; -- Begin function _Z6resizeItLm8EEvPT_miiPKS0_iiffbb
	.globl	_Z6resizeItLm8EEvPT_miiPKS0_iiffbb
	.p2align	8
	.type	_Z6resizeItLm8EEvPT_miiPKS0_iiffbb,@function
_Z6resizeItLm8EEvPT_miiPKS0_iiffbb:     ; @_Z6resizeItLm8EEvPT_miiPKS0_iiffbb
; %bb.0:
	s_load_b128 s[4:7], s[0:1], 0x8
	s_waitcnt lgkmcnt(0)
	s_mul_i32 s12, s7, s6
	s_delay_alu instid0(SALU_CYCLE_1) | instskip(NEXT) | instid1(SALU_CYCLE_1)
	s_ashr_i32 s13, s12, 31
	s_or_b64 s[8:9], s[4:5], s[12:13]
	s_mov_b32 s8, 0
	s_delay_alu instid0(SALU_CYCLE_1)
	s_cmp_lg_u64 s[8:9], 0
	s_cbranch_scc0 .LBB3_15
; %bb.1:
	v_cvt_f32_u32_e32 v1, s12
	v_cvt_f32_u32_e32 v2, s13
	s_sub_u32 s6, 0, s12
	s_subb_u32 s9, 0, s13
	s_delay_alu instid0(VALU_DEP_1) | instskip(NEXT) | instid1(VALU_DEP_1)
	v_fmamk_f32 v1, v2, 0x4f800000, v1
	v_rcp_f32_e32 v1, v1
	s_waitcnt_depctr 0xfff
	v_mul_f32_e32 v1, 0x5f7ffffc, v1
	s_delay_alu instid0(VALU_DEP_1) | instskip(NEXT) | instid1(VALU_DEP_1)
	v_mul_f32_e32 v2, 0x2f800000, v1
	v_trunc_f32_e32 v2, v2
	s_delay_alu instid0(VALU_DEP_1) | instskip(SKIP_1) | instid1(VALU_DEP_2)
	v_fmamk_f32 v1, v2, 0xcf800000, v1
	v_cvt_u32_f32_e32 v2, v2
	v_cvt_u32_f32_e32 v1, v1
	s_delay_alu instid0(VALU_DEP_2) | instskip(NEXT) | instid1(VALU_DEP_2)
	v_readfirstlane_b32 s2, v2
	v_readfirstlane_b32 s3, v1
	s_delay_alu instid0(VALU_DEP_2) | instskip(NEXT) | instid1(VALU_DEP_1)
	s_mul_i32 s10, s6, s2
	s_mul_hi_u32 s14, s6, s3
	s_mul_i32 s11, s9, s3
	s_add_i32 s10, s14, s10
	s_mul_i32 s16, s6, s3
	s_add_i32 s10, s10, s11
	s_mul_hi_u32 s14, s3, s16
	s_mul_hi_u32 s17, s2, s16
	s_mul_i32 s11, s2, s16
	s_mul_hi_u32 s16, s3, s10
	s_mul_i32 s3, s3, s10
	s_mul_hi_u32 s18, s2, s10
	s_add_u32 s3, s14, s3
	s_addc_u32 s14, 0, s16
	s_add_u32 s3, s3, s11
	s_mul_i32 s10, s2, s10
	s_addc_u32 s3, s14, s17
	s_addc_u32 s11, s18, 0
	s_add_u32 s3, s3, s10
	s_addc_u32 s10, 0, s11
	v_add_co_u32 v1, s3, v1, s3
	s_delay_alu instid0(VALU_DEP_1) | instskip(SKIP_1) | instid1(VALU_DEP_1)
	s_cmp_lg_u32 s3, 0
	s_addc_u32 s2, s2, s10
	v_readfirstlane_b32 s3, v1
	s_mul_i32 s10, s6, s2
	s_delay_alu instid0(VALU_DEP_1)
	s_mul_hi_u32 s11, s6, s3
	s_mul_i32 s9, s9, s3
	s_add_i32 s10, s11, s10
	s_mul_i32 s6, s6, s3
	s_add_i32 s10, s10, s9
	s_mul_hi_u32 s11, s2, s6
	s_mul_i32 s14, s2, s6
	s_mul_hi_u32 s6, s3, s6
	s_mul_hi_u32 s16, s3, s10
	s_mul_i32 s3, s3, s10
	s_mul_hi_u32 s9, s2, s10
	s_add_u32 s3, s6, s3
	s_addc_u32 s6, 0, s16
	s_add_u32 s3, s3, s14
	s_mul_i32 s10, s2, s10
	s_addc_u32 s3, s6, s11
	s_addc_u32 s6, s9, 0
	s_add_u32 s3, s3, s10
	s_addc_u32 s6, 0, s6
	v_add_co_u32 v1, s3, v1, s3
	s_delay_alu instid0(VALU_DEP_1) | instskip(SKIP_1) | instid1(VALU_DEP_1)
	s_cmp_lg_u32 s3, 0
	s_addc_u32 s2, s2, s6
	v_readfirstlane_b32 s3, v1
	s_mul_i32 s9, s4, s2
	s_mul_hi_u32 s6, s4, s2
	s_mul_hi_u32 s10, s5, s2
	s_mul_i32 s2, s5, s2
	s_mul_hi_u32 s11, s4, s3
	s_mul_hi_u32 s14, s5, s3
	s_mul_i32 s3, s5, s3
	s_add_u32 s9, s11, s9
	s_addc_u32 s6, 0, s6
	s_add_u32 s3, s9, s3
	s_addc_u32 s3, s6, s14
	s_addc_u32 s6, s10, 0
	s_add_u32 s3, s3, s2
	s_addc_u32 s6, 0, s6
	s_mul_hi_u32 s2, s12, s3
	s_mul_i32 s10, s12, s6
	s_mul_i32 s11, s12, s3
	s_add_i32 s2, s2, s10
	v_sub_co_u32 v1, s10, s4, s11
	s_mul_i32 s9, s13, s3
	s_delay_alu instid0(SALU_CYCLE_1) | instskip(NEXT) | instid1(VALU_DEP_1)
	s_add_i32 s2, s2, s9
	v_sub_co_u32 v2, s11, v1, s12
	s_sub_i32 s9, s5, s2
	s_cmp_lg_u32 s10, 0
	s_subb_u32 s9, s9, s13
	s_cmp_lg_u32 s11, 0
	v_cmp_le_u32_e32 vcc_lo, s12, v2
	s_subb_u32 s9, s9, 0
	s_delay_alu instid0(SALU_CYCLE_1)
	s_cmp_ge_u32 s9, s13
	v_cndmask_b32_e64 v2, 0, -1, vcc_lo
	s_cselect_b32 s11, -1, 0
	s_cmp_eq_u32 s9, s13
	s_cselect_b32 vcc_lo, -1, 0
	s_add_u32 s9, s3, 1
	v_cndmask_b32_e32 v2, s11, v2, vcc_lo
	s_addc_u32 s11, s6, 0
	s_add_u32 s14, s3, 2
	s_addc_u32 s16, s6, 0
	v_mov_b32_e32 v3, s14
	s_cmp_lg_u32 s10, 0
	v_cmp_le_u32_e32 vcc_lo, s12, v1
	s_subb_u32 s2, s5, s2
	s_delay_alu instid0(SALU_CYCLE_1)
	s_cmp_ge_u32 s2, s13
	v_cndmask_b32_e64 v1, 0, -1, vcc_lo
	s_cselect_b32 s5, -1, 0
	s_cmp_eq_u32 s2, s13
	v_cmp_ne_u32_e32 vcc_lo, 0, v2
	s_cselect_b32 s2, -1, 0
	v_mov_b32_e32 v2, s16
	v_cndmask_b32_e64 v1, s5, v1, s2
	v_cndmask_b32_e32 v3, s9, v3, vcc_lo
	s_delay_alu instid0(VALU_DEP_3) | instskip(NEXT) | instid1(VALU_DEP_3)
	v_cndmask_b32_e32 v2, s11, v2, vcc_lo
	v_cmp_ne_u32_e32 vcc_lo, 0, v1
	s_delay_alu instid0(VALU_DEP_2) | instskip(NEXT) | instid1(VALU_DEP_4)
	v_cndmask_b32_e32 v2, s6, v2, vcc_lo
	v_cndmask_b32_e32 v1, s3, v3, vcc_lo
	s_and_not1_b32 vcc_lo, exec_lo, s8
	s_cbranch_vccnz .LBB3_3
.LBB3_2:
	v_cvt_f32_u32_e32 v1, s12
	s_sub_i32 s3, 0, s12
	s_delay_alu instid0(VALU_DEP_1) | instskip(SKIP_2) | instid1(VALU_DEP_1)
	v_rcp_iflag_f32_e32 v1, v1
	s_waitcnt_depctr 0xfff
	v_mul_f32_e32 v1, 0x4f7ffffe, v1
	v_cvt_u32_f32_e32 v1, v1
	s_delay_alu instid0(VALU_DEP_1) | instskip(NEXT) | instid1(VALU_DEP_1)
	v_readfirstlane_b32 s2, v1
	s_mul_i32 s3, s3, s2
	s_delay_alu instid0(SALU_CYCLE_1) | instskip(NEXT) | instid1(SALU_CYCLE_1)
	s_mul_hi_u32 s3, s2, s3
	s_add_i32 s2, s2, s3
	s_delay_alu instid0(SALU_CYCLE_1) | instskip(NEXT) | instid1(SALU_CYCLE_1)
	s_mul_hi_u32 s2, s4, s2
	s_mul_i32 s3, s2, s12
	s_delay_alu instid0(SALU_CYCLE_1)
	s_sub_i32 s3, s4, s3
	s_add_i32 s4, s2, 1
	s_sub_i32 s5, s3, s12
	s_cmp_ge_u32 s3, s12
	s_cselect_b32 s2, s4, s2
	s_cselect_b32 s3, s5, s3
	s_add_i32 s4, s2, 1
	s_cmp_ge_u32 s3, s12
	s_mov_b32 s3, 0
	s_cselect_b32 s2, s4, s2
	s_delay_alu instid0(SALU_CYCLE_1)
	v_dual_mov_b32 v1, s2 :: v_dual_mov_b32 v2, s3
.LBB3_3:
	s_load_b32 s2, s[0:1], 0x44
	s_delay_alu instid0(VALU_DEP_1) | instskip(SKIP_3) | instid1(VALU_DEP_2)
	v_alignbit_b32 v3, v2, v1, 3
	v_lshrrev_b32_e32 v1, 3, v2
	s_add_u32 s4, s0, 56
	s_addc_u32 s5, s1, 0
	v_mul_lo_u32 v4, v3, s13
	v_mul_hi_u32 v5, v3, s12
	v_mul_lo_u32 v6, v1, s12
	v_mul_lo_u32 v3, v3, s12
	s_waitcnt lgkmcnt(0)
	s_and_b32 s17, s2, 0xffff
	s_mov_b32 s2, exec_lo
	v_mad_u64_u32 v[1:2], null, s15, s17, v[0:1]
	s_delay_alu instid0(VALU_DEP_4) | instskip(NEXT) | instid1(VALU_DEP_1)
	v_add_nc_u32_e32 v0, v5, v4
	v_add_nc_u32_e32 v4, v0, v6
	s_delay_alu instid0(VALU_DEP_3) | instskip(NEXT) | instid1(VALU_DEP_1)
	v_ashrrev_i32_e32 v2, 31, v1
	v_cmpx_gt_u64_e64 v[3:4], v[1:2]
	s_cbranch_execz .LBB3_14
; %bb.4:
	s_clause 0x1
	s_load_b32 s2, s[0:1], 0x30
	s_load_b128 s[8:11], s[0:1], 0x20
	s_load_b32 s23, s[4:5], 0x0
	s_waitcnt lgkmcnt(0)
	s_bitcmp1_b32 s2, 0
	s_mul_i32 s16, s9, s8
	s_cselect_b32 s3, -1, 0
	s_mul_i32 s23, s23, s17
	s_xor_b32 s3, s3, -1
	s_bitcmp1_b32 s2, 8
	s_cselect_b32 s2, -1, 0
	s_abs_i32 s6, s12
	s_abs_i32 s22, s7
	v_cvt_f32_u32_e32 v0, s6
	v_cvt_f32_u32_e32 v2, s22
	s_sub_i32 s4, 0, s6
	s_sub_i32 s5, 0, s22
	s_ashr_i32 s17, s16, 31
	v_rcp_iflag_f32_e32 v0, v0
	v_rcp_iflag_f32_e32 v2, v2
	s_add_i32 s24, s9, -1
	s_add_i32 s8, s8, -1
	s_ashr_i32 s25, s12, 31
	s_ashr_i32 s26, s7, 31
	s_sub_i32 s27, 0, s12
	s_lshl_b64 s[18:19], s[16:17], 1
	s_lshl_b64 s[20:21], s[12:13], 1
	s_waitcnt_depctr 0xfff
	v_mul_f32_e32 v0, 0x4f7ffffe, v0
	v_mul_f32_e32 v2, 0x4f7ffffe, v2
	s_delay_alu instid0(VALU_DEP_2) | instskip(NEXT) | instid1(VALU_DEP_2)
	v_cvt_u32_f32_e32 v0, v0
	v_cvt_u32_f32_e32 v2, v2
	s_delay_alu instid0(VALU_DEP_2) | instskip(NEXT) | instid1(VALU_DEP_2)
	v_mul_lo_u32 v5, s4, v0
	v_mul_lo_u32 v6, s5, v2
	s_clause 0x1
	s_load_b64 s[4:5], s[0:1], 0x0
	s_load_b64 s[14:15], s[0:1], 0x18
	s_mov_b32 s1, 0
	s_delay_alu instid0(VALU_DEP_2) | instskip(NEXT) | instid1(VALU_DEP_2)
	v_mul_hi_u32 v5, v0, v5
	v_mul_hi_u32 v6, v2, v6
	s_delay_alu instid0(VALU_DEP_2) | instskip(NEXT) | instid1(VALU_DEP_2)
	v_add_nc_u32_e32 v0, v0, v5
	v_add_nc_u32_e32 v8, v2, v6
	s_branch .LBB3_6
.LBB3_5:                                ;   in Loop: Header=BB3_6 Depth=1
	v_lshlrev_b32_e32 v7, 3, v10
	v_min_i32_e32 v5, s8, v5
	s_delay_alu instid0(VALU_DEP_3) | instskip(SKIP_4) | instid1(VALU_DEP_1)
	v_min_i32_e32 v6, s24, v6
	v_mul_lo_u32 v2, v2, s7
	v_add_nc_u32_e32 v1, s23, v1
	v_mul_lo_u32 v10, v7, s16
	v_mul_lo_u32 v5, v5, s9
	v_add3_u32 v5, v5, v10, v6
	s_delay_alu instid0(VALU_DEP_1) | instskip(NEXT) | instid1(VALU_DEP_1)
	v_ashrrev_i32_e32 v6, 31, v5
	v_lshlrev_b64 v[5:6], 1, v[5:6]
	s_waitcnt lgkmcnt(0)
	s_delay_alu instid0(VALU_DEP_1) | instskip(NEXT) | instid1(VALU_DEP_2)
	v_add_co_u32 v5, vcc_lo, s14, v5
	v_add_co_ci_u32_e32 v6, vcc_lo, s15, v6, vcc_lo
	s_delay_alu instid0(VALU_DEP_2) | instskip(NEXT) | instid1(VALU_DEP_2)
	v_add_co_u32 v10, vcc_lo, v5, s18
	v_add_co_ci_u32_e32 v11, vcc_lo, s19, v6, vcc_lo
	s_delay_alu instid0(VALU_DEP_2) | instskip(NEXT) | instid1(VALU_DEP_2)
	;; [unrolled: 3-line block ×3, first 2 shown]
	v_add_co_u32 v14, vcc_lo, v12, s18
	v_add_co_ci_u32_e32 v15, vcc_lo, s19, v13, vcc_lo
	s_clause 0x3
	global_load_u16 v16, v[5:6], off
	global_load_u16 v17, v[10:11], off
	global_load_u16 v18, v[12:13], off
	global_load_u16 v19, v[14:15], off
	v_add_co_u32 v5, vcc_lo, v14, s18
	v_add_co_ci_u32_e32 v6, vcc_lo, s19, v15, vcc_lo
	s_delay_alu instid0(VALU_DEP_2) | instskip(NEXT) | instid1(VALU_DEP_2)
	v_add_co_u32 v10, vcc_lo, v5, s18
	v_add_co_ci_u32_e32 v11, vcc_lo, s19, v6, vcc_lo
	s_delay_alu instid0(VALU_DEP_2) | instskip(NEXT) | instid1(VALU_DEP_2)
	;; [unrolled: 3-line block ×3, first 2 shown]
	v_add_co_u32 v14, vcc_lo, v12, s18
	v_add_co_ci_u32_e32 v15, vcc_lo, s19, v13, vcc_lo
	s_clause 0x1
	global_load_u16 v20, v[5:6], off
	global_load_u16 v21, v[10:11], off
	;; [unrolled: 1-line block ×4, first 2 shown]
	v_mul_lo_u32 v5, v7, s12
	s_delay_alu instid0(VALU_DEP_1) | instskip(SKIP_1) | instid1(VALU_DEP_2)
	v_add3_u32 v5, v2, v5, v9
	v_ashrrev_i32_e32 v2, 31, v1
	v_ashrrev_i32_e32 v6, 31, v5
	s_delay_alu instid0(VALU_DEP_1) | instskip(NEXT) | instid1(VALU_DEP_1)
	v_lshlrev_b64 v[5:6], 1, v[5:6]
	v_add_co_u32 v5, vcc_lo, s4, v5
	s_delay_alu instid0(VALU_DEP_2) | instskip(NEXT) | instid1(VALU_DEP_2)
	v_add_co_ci_u32_e32 v6, vcc_lo, s5, v6, vcc_lo
	v_add_co_u32 v9, vcc_lo, v5, s20
	s_delay_alu instid0(VALU_DEP_2) | instskip(NEXT) | instid1(VALU_DEP_2)
	v_add_co_ci_u32_e32 v10, vcc_lo, s21, v6, vcc_lo
	;; [unrolled: 3-line block ×3, first 2 shown]
	v_add_co_u32 v13, vcc_lo, v11, s20
	s_delay_alu instid0(VALU_DEP_2)
	v_add_co_ci_u32_e32 v14, vcc_lo, s21, v12, vcc_lo
	s_waitcnt vmcnt(7)
	global_store_b16 v[5:6], v16, off
	s_waitcnt vmcnt(6)
	global_store_b16 v[9:10], v17, off
	;; [unrolled: 2-line block ×4, first 2 shown]
	v_add_co_u32 v5, vcc_lo, v13, s20
	v_add_co_ci_u32_e32 v6, vcc_lo, s21, v14, vcc_lo
	s_delay_alu instid0(VALU_DEP_2) | instskip(NEXT) | instid1(VALU_DEP_2)
	v_add_co_u32 v9, vcc_lo, v5, s20
	v_add_co_ci_u32_e32 v10, vcc_lo, s21, v6, vcc_lo
	s_waitcnt vmcnt(3)
	global_store_b16 v[5:6], v20, off
	s_waitcnt vmcnt(2)
	global_store_b16 v[9:10], v21, off
	v_add_co_u32 v11, vcc_lo, v9, s20
	v_add_co_ci_u32_e32 v12, vcc_lo, s21, v10, vcc_lo
	v_cmp_le_u64_e32 vcc_lo, v[3:4], v[1:2]
	s_delay_alu instid0(VALU_DEP_3) | instskip(NEXT) | instid1(VALU_DEP_1)
	v_add_co_u32 v13, s0, v11, s20
	v_add_co_ci_u32_e64 v14, s0, s21, v12, s0
	s_waitcnt vmcnt(1)
	global_store_b16 v[11:12], v22, off
	s_waitcnt vmcnt(0)
	global_store_b16 v[13:14], v15, off
	s_or_b32 s1, vcc_lo, s1
	s_delay_alu instid0(SALU_CYCLE_1)
	s_and_not1_b32 exec_lo, exec_lo, s1
	s_cbranch_execz .LBB3_14
.LBB3_6:                                ; =>This Inner Loop Header: Depth=1
	v_sub_nc_u32_e32 v2, 0, v1
	v_ashrrev_i32_e32 v7, 31, v1
	s_mov_b32 s0, -1
	s_delay_alu instid0(VALU_DEP_2) | instskip(NEXT) | instid1(VALU_DEP_1)
	v_max_i32_e32 v9, v1, v2
	v_mul_hi_u32 v2, v9, v0
	s_delay_alu instid0(VALU_DEP_1) | instskip(SKIP_1) | instid1(VALU_DEP_2)
	v_mul_lo_u32 v5, v2, s6
	v_add_nc_u32_e32 v6, 1, v2
	v_sub_nc_u32_e32 v5, v9, v5
	s_delay_alu instid0(VALU_DEP_1) | instskip(SKIP_1) | instid1(VALU_DEP_4)
	v_subrev_nc_u32_e32 v10, s6, v5
	v_cmp_le_u32_e32 vcc_lo, s6, v5
	v_cndmask_b32_e32 v2, v2, v6, vcc_lo
	s_delay_alu instid0(VALU_DEP_3) | instskip(SKIP_1) | instid1(VALU_DEP_3)
	v_cndmask_b32_e32 v5, v5, v10, vcc_lo
	v_xor_b32_e32 v10, s25, v7
	v_add_nc_u32_e32 v6, 1, v2
	s_delay_alu instid0(VALU_DEP_3) | instskip(NEXT) | instid1(VALU_DEP_2)
	v_cmp_le_u32_e32 vcc_lo, s6, v5
	v_cndmask_b32_e32 v2, v2, v6, vcc_lo
	s_delay_alu instid0(VALU_DEP_1) | instskip(NEXT) | instid1(VALU_DEP_1)
	v_xor_b32_e32 v2, v2, v10
	v_sub_nc_u32_e32 v10, v2, v10
	s_delay_alu instid0(VALU_DEP_1) | instskip(SKIP_1) | instid1(VALU_DEP_2)
	v_mad_u64_u32 v[5:6], null, s27, v10, v[1:2]
	v_mul_lo_u32 v2, v10, s12
	v_ashrrev_i32_e32 v5, 31, v5
	s_delay_alu instid0(VALU_DEP_1) | instskip(NEXT) | instid1(VALU_DEP_1)
	v_sub_nc_u32_e32 v2, v5, v2
	v_add_nc_u32_e32 v2, v1, v2
	s_delay_alu instid0(VALU_DEP_1) | instskip(SKIP_1) | instid1(VALU_DEP_2)
	v_xor_b32_e32 v2, v2, v5
	v_xor_b32_e32 v5, s26, v5
	v_mul_hi_u32 v6, v2, v8
	s_delay_alu instid0(VALU_DEP_1) | instskip(NEXT) | instid1(VALU_DEP_1)
	v_mul_lo_u32 v11, v6, s22
	v_sub_nc_u32_e32 v2, v2, v11
	s_delay_alu instid0(VALU_DEP_1) | instskip(SKIP_1) | instid1(VALU_DEP_2)
	v_subrev_nc_u32_e32 v12, s22, v2
	v_cmp_le_u32_e32 vcc_lo, s22, v2
	v_dual_cndmask_b32 v2, v2, v12 :: v_dual_add_nc_u32 v11, 1, v6
	s_delay_alu instid0(VALU_DEP_1) | instskip(NEXT) | instid1(VALU_DEP_2)
	v_cndmask_b32_e32 v6, v6, v11, vcc_lo
	v_cmp_le_u32_e32 vcc_lo, s22, v2
	s_delay_alu instid0(VALU_DEP_2) | instskip(NEXT) | instid1(VALU_DEP_1)
	v_add_nc_u32_e32 v11, 1, v6
	v_cndmask_b32_e32 v2, v6, v11, vcc_lo
	s_and_b32 vcc_lo, exec_lo, s3
	s_delay_alu instid0(VALU_DEP_1) | instskip(NEXT) | instid1(VALU_DEP_1)
	v_xor_b32_e32 v2, v2, v5
	v_sub_nc_u32_e32 v2, v2, v5
	s_delay_alu instid0(VALU_DEP_1) | instskip(NEXT) | instid1(VALU_DEP_1)
	v_cvt_f32_i32_e32 v5, v2
	v_add_f32_e32 v6, 0.5, v5
	s_delay_alu instid0(VALU_DEP_1) | instskip(NEXT) | instid1(VALU_DEP_1)
	v_cndmask_b32_e64 v5, v5, v6, s2
	v_mul_f32_e32 v11, s10, v5
                                        ; implicit-def: $vgpr5_vgpr6
	s_cbranch_vccz .LBB3_8
; %bb.7:                                ;   in Loop: Header=BB3_6 Depth=1
	s_delay_alu instid0(VALU_DEP_1)
	v_cvt_i32_f32_e32 v5, v11
	s_mov_b32 s0, 0
.LBB3_8:                                ;   in Loop: Header=BB3_6 Depth=1
	s_delay_alu instid0(SALU_CYCLE_1)
	s_and_not1_b32 vcc_lo, exec_lo, s0
	s_cbranch_vccnz .LBB3_10
; %bb.9:                                ;   in Loop: Header=BB3_6 Depth=1
	s_delay_alu instid0(VALU_DEP_1) | instskip(NEXT) | instid1(VALU_DEP_1)
	v_trunc_f32_e32 v5, v11
	v_sub_f32_e32 v6, v11, v5
	s_delay_alu instid0(VALU_DEP_1) | instskip(NEXT) | instid1(VALU_DEP_1)
	v_cmp_ge_f32_e64 s0, |v6|, 0.5
	v_cndmask_b32_e64 v6, 0, 1.0, s0
	s_delay_alu instid0(VALU_DEP_1) | instskip(NEXT) | instid1(VALU_DEP_1)
	v_bfi_b32 v6, 0x7fffffff, v6, v11
	v_add_f32_e32 v5, v5, v6
	s_delay_alu instid0(VALU_DEP_1) | instskip(NEXT) | instid1(VALU_DEP_1)
	v_trunc_f32_e32 v5, v5
	v_mul_f32_e64 v6, 0x2f800000, |v5|
	s_delay_alu instid0(VALU_DEP_1) | instskip(NEXT) | instid1(VALU_DEP_1)
	v_floor_f32_e32 v6, v6
	v_fma_f32 v6, 0xcf800000, v6, |v5|
	v_ashrrev_i32_e32 v5, 31, v5
	s_delay_alu instid0(VALU_DEP_2) | instskip(NEXT) | instid1(VALU_DEP_1)
	v_cvt_u32_f32_e32 v6, v6
	v_xor_b32_e32 v6, v6, v5
	s_delay_alu instid0(VALU_DEP_1)
	v_sub_co_u32 v5, vcc_lo, v6, v5
.LBB3_10:                               ;   in Loop: Header=BB3_6 Depth=1
	v_mul_hi_u32 v6, v9, v8
	s_delay_alu instid0(VALU_DEP_1) | instskip(NEXT) | instid1(VALU_DEP_1)
	v_mul_lo_u32 v6, v6, s22
	v_sub_nc_u32_e32 v6, v9, v6
	s_delay_alu instid0(VALU_DEP_1) | instskip(SKIP_1) | instid1(VALU_DEP_2)
	v_subrev_nc_u32_e32 v9, s22, v6
	v_cmp_le_u32_e32 vcc_lo, s22, v6
	v_cndmask_b32_e32 v6, v6, v9, vcc_lo
	s_delay_alu instid0(VALU_DEP_1) | instskip(SKIP_1) | instid1(VALU_DEP_2)
	v_subrev_nc_u32_e32 v9, s22, v6
	v_cmp_le_u32_e32 vcc_lo, s22, v6
	v_cndmask_b32_e32 v6, v6, v9, vcc_lo
	s_and_b32 vcc_lo, exec_lo, s3
	s_delay_alu instid0(VALU_DEP_1) | instskip(NEXT) | instid1(VALU_DEP_1)
	v_xor_b32_e32 v6, v6, v7
	v_sub_nc_u32_e32 v9, v6, v7
	s_delay_alu instid0(VALU_DEP_1) | instskip(NEXT) | instid1(VALU_DEP_1)
	v_cvt_f32_i32_e32 v6, v9
	v_add_f32_e32 v7, 0.5, v6
	s_delay_alu instid0(VALU_DEP_1) | instskip(NEXT) | instid1(VALU_DEP_1)
	v_cndmask_b32_e64 v6, v6, v7, s2
	v_mul_f32_e32 v11, s11, v6
	s_cbranch_vccz .LBB3_12
; %bb.11:                               ;   in Loop: Header=BB3_6 Depth=1
	s_delay_alu instid0(VALU_DEP_1)
	v_cvt_i32_f32_e32 v6, v11
	s_cbranch_execnz .LBB3_5
	s_branch .LBB3_13
.LBB3_12:                               ;   in Loop: Header=BB3_6 Depth=1
                                        ; implicit-def: $vgpr6_vgpr7
.LBB3_13:                               ;   in Loop: Header=BB3_6 Depth=1
	s_delay_alu instid0(VALU_DEP_1) | instskip(NEXT) | instid1(VALU_DEP_1)
	v_trunc_f32_e32 v6, v11
	v_sub_f32_e32 v7, v11, v6
	s_delay_alu instid0(VALU_DEP_1) | instskip(NEXT) | instid1(VALU_DEP_1)
	v_cmp_ge_f32_e64 s0, |v7|, 0.5
	v_cndmask_b32_e64 v7, 0, 1.0, s0
	s_delay_alu instid0(VALU_DEP_1) | instskip(NEXT) | instid1(VALU_DEP_1)
	v_bfi_b32 v7, 0x7fffffff, v7, v11
	v_add_f32_e32 v6, v6, v7
	s_delay_alu instid0(VALU_DEP_1) | instskip(NEXT) | instid1(VALU_DEP_1)
	v_trunc_f32_e32 v6, v6
	v_mul_f32_e64 v7, 0x2f800000, |v6|
	s_delay_alu instid0(VALU_DEP_1) | instskip(NEXT) | instid1(VALU_DEP_1)
	v_floor_f32_e32 v7, v7
	v_fma_f32 v7, 0xcf800000, v7, |v6|
	v_ashrrev_i32_e32 v6, 31, v6
	s_delay_alu instid0(VALU_DEP_2) | instskip(NEXT) | instid1(VALU_DEP_1)
	v_cvt_u32_f32_e32 v7, v7
	v_xor_b32_e32 v7, v7, v6
	s_delay_alu instid0(VALU_DEP_1)
	v_sub_co_u32 v6, vcc_lo, v7, v6
	s_branch .LBB3_5
.LBB3_14:
	s_nop 0
	s_sendmsg sendmsg(MSG_DEALLOC_VGPRS)
	s_endpgm
.LBB3_15:
                                        ; implicit-def: $vgpr1_vgpr2
	s_branch .LBB3_2
	.section	.rodata,"a",@progbits
	.p2align	6, 0x0
	.amdhsa_kernel _Z6resizeItLm8EEvPT_miiPKS0_iiffbb
		.amdhsa_group_segment_fixed_size 0
		.amdhsa_private_segment_fixed_size 0
		.amdhsa_kernarg_size 312
		.amdhsa_user_sgpr_count 15
		.amdhsa_user_sgpr_dispatch_ptr 0
		.amdhsa_user_sgpr_queue_ptr 0
		.amdhsa_user_sgpr_kernarg_segment_ptr 1
		.amdhsa_user_sgpr_dispatch_id 0
		.amdhsa_user_sgpr_private_segment_size 0
		.amdhsa_wavefront_size32 1
		.amdhsa_uses_dynamic_stack 0
		.amdhsa_enable_private_segment 0
		.amdhsa_system_sgpr_workgroup_id_x 1
		.amdhsa_system_sgpr_workgroup_id_y 0
		.amdhsa_system_sgpr_workgroup_id_z 0
		.amdhsa_system_sgpr_workgroup_info 0
		.amdhsa_system_vgpr_workitem_id 0
		.amdhsa_next_free_vgpr 23
		.amdhsa_next_free_sgpr 28
		.amdhsa_reserve_vcc 1
		.amdhsa_float_round_mode_32 0
		.amdhsa_float_round_mode_16_64 0
		.amdhsa_float_denorm_mode_32 3
		.amdhsa_float_denorm_mode_16_64 3
		.amdhsa_dx10_clamp 1
		.amdhsa_ieee_mode 1
		.amdhsa_fp16_overflow 0
		.amdhsa_workgroup_processor_mode 1
		.amdhsa_memory_ordered 1
		.amdhsa_forward_progress 0
		.amdhsa_shared_vgpr_count 0
		.amdhsa_exception_fp_ieee_invalid_op 0
		.amdhsa_exception_fp_denorm_src 0
		.amdhsa_exception_fp_ieee_div_zero 0
		.amdhsa_exception_fp_ieee_overflow 0
		.amdhsa_exception_fp_ieee_underflow 0
		.amdhsa_exception_fp_ieee_inexact 0
		.amdhsa_exception_int_div_zero 0
	.end_amdhsa_kernel
	.section	.text._Z6resizeItLm8EEvPT_miiPKS0_iiffbb,"axG",@progbits,_Z6resizeItLm8EEvPT_miiPKS0_iiffbb,comdat
.Lfunc_end3:
	.size	_Z6resizeItLm8EEvPT_miiPKS0_iiffbb, .Lfunc_end3-_Z6resizeItLm8EEvPT_miiPKS0_iiffbb
                                        ; -- End function
	.section	.AMDGPU.csdata,"",@progbits
; Kernel info:
; codeLenInByte = 2320
; NumSgprs: 30
; NumVgprs: 23
; ScratchSize: 0
; MemoryBound: 0
; FloatMode: 240
; IeeeMode: 1
; LDSByteSize: 0 bytes/workgroup (compile time only)
; SGPRBlocks: 3
; VGPRBlocks: 2
; NumSGPRsForWavesPerEU: 30
; NumVGPRsForWavesPerEU: 23
; Occupancy: 16
; WaveLimiterHint : 0
; COMPUTE_PGM_RSRC2:SCRATCH_EN: 0
; COMPUTE_PGM_RSRC2:USER_SGPR: 15
; COMPUTE_PGM_RSRC2:TRAP_HANDLER: 0
; COMPUTE_PGM_RSRC2:TGID_X_EN: 1
; COMPUTE_PGM_RSRC2:TGID_Y_EN: 0
; COMPUTE_PGM_RSRC2:TGID_Z_EN: 0
; COMPUTE_PGM_RSRC2:TIDIG_COMP_CNT: 0
	.section	.text._Z15resize_bilinearIjLm8EEvPT_miiPKS0_iiffb,"axG",@progbits,_Z15resize_bilinearIjLm8EEvPT_miiPKS0_iiffb,comdat
	.protected	_Z15resize_bilinearIjLm8EEvPT_miiPKS0_iiffb ; -- Begin function _Z15resize_bilinearIjLm8EEvPT_miiPKS0_iiffb
	.globl	_Z15resize_bilinearIjLm8EEvPT_miiPKS0_iiffb
	.p2align	8
	.type	_Z15resize_bilinearIjLm8EEvPT_miiPKS0_iiffb,@function
_Z15resize_bilinearIjLm8EEvPT_miiPKS0_iiffb: ; @_Z15resize_bilinearIjLm8EEvPT_miiPKS0_iiffb
; %bb.0:
	s_load_b128 s[4:7], s[0:1], 0x8
	s_waitcnt lgkmcnt(0)
	s_mul_i32 s12, s7, s6
	s_delay_alu instid0(SALU_CYCLE_1) | instskip(NEXT) | instid1(SALU_CYCLE_1)
	s_ashr_i32 s13, s12, 31
	s_or_b64 s[8:9], s[4:5], s[12:13]
	s_mov_b32 s8, 0
	s_delay_alu instid0(SALU_CYCLE_1)
	s_cmp_lg_u64 s[8:9], 0
	s_cbranch_scc0 .LBB4_18
; %bb.1:
	v_cvt_f32_u32_e32 v1, s12
	v_cvt_f32_u32_e32 v2, s13
	s_sub_u32 s9, 0, s12
	s_subb_u32 s10, 0, s13
	s_delay_alu instid0(VALU_DEP_1) | instskip(NEXT) | instid1(VALU_DEP_1)
	v_fmamk_f32 v1, v2, 0x4f800000, v1
	v_rcp_f32_e32 v1, v1
	s_waitcnt_depctr 0xfff
	v_mul_f32_e32 v1, 0x5f7ffffc, v1
	s_delay_alu instid0(VALU_DEP_1) | instskip(NEXT) | instid1(VALU_DEP_1)
	v_mul_f32_e32 v2, 0x2f800000, v1
	v_trunc_f32_e32 v2, v2
	s_delay_alu instid0(VALU_DEP_1) | instskip(SKIP_1) | instid1(VALU_DEP_2)
	v_fmamk_f32 v1, v2, 0xcf800000, v1
	v_cvt_u32_f32_e32 v2, v2
	v_cvt_u32_f32_e32 v1, v1
	s_delay_alu instid0(VALU_DEP_2) | instskip(NEXT) | instid1(VALU_DEP_2)
	v_readfirstlane_b32 s2, v2
	v_readfirstlane_b32 s3, v1
	s_delay_alu instid0(VALU_DEP_2) | instskip(NEXT) | instid1(VALU_DEP_1)
	s_mul_i32 s11, s9, s2
	s_mul_hi_u32 s16, s9, s3
	s_mul_i32 s14, s10, s3
	s_add_i32 s11, s16, s11
	s_mul_i32 s17, s9, s3
	s_add_i32 s11, s11, s14
	s_mul_hi_u32 s16, s3, s17
	s_mul_hi_u32 s18, s2, s17
	s_mul_i32 s14, s2, s17
	s_mul_hi_u32 s17, s3, s11
	s_mul_i32 s3, s3, s11
	s_mul_hi_u32 s19, s2, s11
	s_add_u32 s3, s16, s3
	s_addc_u32 s16, 0, s17
	s_add_u32 s3, s3, s14
	s_mul_i32 s11, s2, s11
	s_addc_u32 s3, s16, s18
	s_addc_u32 s14, s19, 0
	s_add_u32 s3, s3, s11
	s_addc_u32 s11, 0, s14
	v_add_co_u32 v1, s3, v1, s3
	s_delay_alu instid0(VALU_DEP_1) | instskip(SKIP_1) | instid1(VALU_DEP_1)
	s_cmp_lg_u32 s3, 0
	s_addc_u32 s2, s2, s11
	v_readfirstlane_b32 s3, v1
	s_mul_i32 s11, s9, s2
	s_delay_alu instid0(VALU_DEP_1)
	s_mul_hi_u32 s14, s9, s3
	s_mul_i32 s10, s10, s3
	s_add_i32 s11, s14, s11
	s_mul_i32 s9, s9, s3
	s_add_i32 s11, s11, s10
	s_mul_hi_u32 s14, s2, s9
	s_mul_i32 s16, s2, s9
	s_mul_hi_u32 s9, s3, s9
	s_mul_hi_u32 s17, s3, s11
	s_mul_i32 s3, s3, s11
	s_mul_hi_u32 s10, s2, s11
	s_add_u32 s3, s9, s3
	s_addc_u32 s9, 0, s17
	s_add_u32 s3, s3, s16
	s_mul_i32 s11, s2, s11
	s_addc_u32 s3, s9, s14
	s_addc_u32 s9, s10, 0
	s_add_u32 s3, s3, s11
	s_addc_u32 s9, 0, s9
	v_add_co_u32 v1, s3, v1, s3
	s_delay_alu instid0(VALU_DEP_1) | instskip(SKIP_1) | instid1(VALU_DEP_1)
	s_cmp_lg_u32 s3, 0
	s_addc_u32 s2, s2, s9
	v_readfirstlane_b32 s3, v1
	s_mul_i32 s10, s4, s2
	s_mul_hi_u32 s9, s4, s2
	s_mul_hi_u32 s11, s5, s2
	s_mul_i32 s2, s5, s2
	s_mul_hi_u32 s14, s4, s3
	s_mul_hi_u32 s16, s5, s3
	s_mul_i32 s3, s5, s3
	s_add_u32 s10, s14, s10
	s_addc_u32 s9, 0, s9
	s_add_u32 s3, s10, s3
	s_addc_u32 s3, s9, s16
	s_addc_u32 s9, s11, 0
	s_add_u32 s3, s3, s2
	s_addc_u32 s9, 0, s9
	s_mul_hi_u32 s2, s12, s3
	s_mul_i32 s11, s12, s9
	s_mul_i32 s14, s12, s3
	s_add_i32 s2, s2, s11
	v_sub_co_u32 v1, s11, s4, s14
	s_mul_i32 s10, s13, s3
	s_delay_alu instid0(SALU_CYCLE_1) | instskip(NEXT) | instid1(VALU_DEP_1)
	s_add_i32 s2, s2, s10
	v_sub_co_u32 v2, s14, v1, s12
	s_sub_i32 s10, s5, s2
	s_cmp_lg_u32 s11, 0
	s_subb_u32 s10, s10, s13
	s_cmp_lg_u32 s14, 0
	v_cmp_le_u32_e32 vcc_lo, s12, v2
	s_subb_u32 s10, s10, 0
	s_delay_alu instid0(SALU_CYCLE_1)
	s_cmp_ge_u32 s10, s13
	v_cndmask_b32_e64 v2, 0, -1, vcc_lo
	s_cselect_b32 s14, -1, 0
	s_cmp_eq_u32 s10, s13
	s_cselect_b32 vcc_lo, -1, 0
	s_add_u32 s10, s3, 1
	v_cndmask_b32_e32 v2, s14, v2, vcc_lo
	s_addc_u32 s14, s9, 0
	s_add_u32 s16, s3, 2
	s_addc_u32 s17, s9, 0
	v_mov_b32_e32 v3, s16
	s_cmp_lg_u32 s11, 0
	v_cmp_le_u32_e32 vcc_lo, s12, v1
	s_subb_u32 s2, s5, s2
	s_delay_alu instid0(SALU_CYCLE_1)
	s_cmp_ge_u32 s2, s13
	v_cndmask_b32_e64 v1, 0, -1, vcc_lo
	s_cselect_b32 s5, -1, 0
	s_cmp_eq_u32 s2, s13
	v_cmp_ne_u32_e32 vcc_lo, 0, v2
	s_cselect_b32 s2, -1, 0
	v_mov_b32_e32 v2, s17
	v_cndmask_b32_e64 v1, s5, v1, s2
	v_cndmask_b32_e32 v3, s10, v3, vcc_lo
	s_delay_alu instid0(VALU_DEP_3) | instskip(NEXT) | instid1(VALU_DEP_3)
	v_cndmask_b32_e32 v2, s14, v2, vcc_lo
	v_cmp_ne_u32_e32 vcc_lo, 0, v1
	s_delay_alu instid0(VALU_DEP_2) | instskip(NEXT) | instid1(VALU_DEP_4)
	v_cndmask_b32_e32 v2, s9, v2, vcc_lo
	v_cndmask_b32_e32 v1, s3, v3, vcc_lo
	s_and_not1_b32 vcc_lo, exec_lo, s8
	s_cbranch_vccnz .LBB4_3
.LBB4_2:
	v_cvt_f32_u32_e32 v1, s12
	s_sub_i32 s3, 0, s12
	s_delay_alu instid0(VALU_DEP_1) | instskip(SKIP_2) | instid1(VALU_DEP_1)
	v_rcp_iflag_f32_e32 v1, v1
	s_waitcnt_depctr 0xfff
	v_mul_f32_e32 v1, 0x4f7ffffe, v1
	v_cvt_u32_f32_e32 v1, v1
	s_delay_alu instid0(VALU_DEP_1) | instskip(NEXT) | instid1(VALU_DEP_1)
	v_readfirstlane_b32 s2, v1
	s_mul_i32 s3, s3, s2
	s_delay_alu instid0(SALU_CYCLE_1) | instskip(NEXT) | instid1(SALU_CYCLE_1)
	s_mul_hi_u32 s3, s2, s3
	s_add_i32 s2, s2, s3
	s_delay_alu instid0(SALU_CYCLE_1) | instskip(NEXT) | instid1(SALU_CYCLE_1)
	s_mul_hi_u32 s2, s4, s2
	s_mul_i32 s3, s2, s12
	s_delay_alu instid0(SALU_CYCLE_1)
	s_sub_i32 s3, s4, s3
	s_add_i32 s4, s2, 1
	s_sub_i32 s5, s3, s12
	s_cmp_ge_u32 s3, s12
	s_cselect_b32 s2, s4, s2
	s_cselect_b32 s3, s5, s3
	s_add_i32 s4, s2, 1
	s_cmp_ge_u32 s3, s12
	s_mov_b32 s3, 0
	s_cselect_b32 s2, s4, s2
	s_delay_alu instid0(SALU_CYCLE_1)
	v_dual_mov_b32 v1, s2 :: v_dual_mov_b32 v2, s3
.LBB4_3:
	s_load_b32 s4, s[0:1], 0x44
	s_delay_alu instid0(VALU_DEP_1) | instskip(SKIP_3) | instid1(VALU_DEP_2)
	v_alignbit_b32 v3, v2, v1, 3
	v_lshrrev_b32_e32 v1, 3, v2
	s_add_u32 s2, s0, 56
	s_addc_u32 s3, s1, 0
	v_mul_lo_u32 v4, v3, s13
	v_mul_hi_u32 v5, v3, s12
	v_mul_lo_u32 v6, v1, s12
	v_mul_lo_u32 v3, v3, s12
	s_waitcnt lgkmcnt(0)
	s_and_b32 s16, s4, 0xffff
	s_mov_b32 s4, exec_lo
	v_mad_u64_u32 v[1:2], null, s15, s16, v[0:1]
	s_delay_alu instid0(VALU_DEP_4) | instskip(NEXT) | instid1(VALU_DEP_1)
	v_add_nc_u32_e32 v0, v5, v4
	v_add_nc_u32_e32 v4, v0, v6
	s_delay_alu instid0(VALU_DEP_3) | instskip(NEXT) | instid1(VALU_DEP_1)
	v_ashrrev_i32_e32 v2, 31, v1
	v_cmpx_gt_u64_e64 v[3:4], v[1:2]
	s_cbranch_execz .LBB4_17
; %bb.4:
	s_clause 0x1
	s_load_b32 s4, s[0:1], 0x30
	s_load_b128 s[8:11], s[0:1], 0x20
	s_load_b32 s26, s[2:3], 0x0
	s_waitcnt lgkmcnt(0)
	s_mul_i32 s14, s9, s8
	s_bitcmp1_b32 s4, 0
	s_mul_i32 s26, s26, s16
	s_cselect_b32 s17, -1, 0
	s_abs_i32 s24, s12
	s_abs_i32 s25, s7
	v_cvt_f32_u32_e32 v0, s24
	v_cvt_f32_u32_e32 v2, s25
	s_sub_i32 s2, 0, s24
	s_sub_i32 s3, 0, s25
	s_add_i32 s16, s9, -1
	v_rcp_iflag_f32_e32 v0, v0
	v_rcp_iflag_f32_e32 v2, v2
	s_ashr_i32 s15, s14, 31
	s_add_i32 s8, s8, -1
	s_ashr_i32 s27, s12, 31
	s_ashr_i32 s28, s7, 31
	s_xor_b32 s29, s17, -1
	s_lshl_b64 s[18:19], s[14:15], 2
	s_ashr_i32 s17, s16, 31
	s_lshl_b64 s[20:21], s[12:13], 2
	s_waitcnt_depctr 0xfff
	v_mul_f32_e32 v0, 0x4f7ffffe, v0
	s_delay_alu instid0(VALU_DEP_1) | instskip(NEXT) | instid1(VALU_DEP_1)
	v_cvt_u32_f32_e32 v0, v0
	v_mul_lo_u32 v5, s2, v0
	s_delay_alu instid0(VALU_DEP_1) | instskip(NEXT) | instid1(VALU_DEP_1)
	v_mul_hi_u32 v5, v0, v5
	v_dual_mul_f32 v2, 0x4f7ffffe, v2 :: v_dual_add_nc_u32 v7, v0, v5
	s_delay_alu instid0(VALU_DEP_1) | instskip(NEXT) | instid1(VALU_DEP_1)
	v_cvt_u32_f32_e32 v2, v2
	v_mul_lo_u32 v6, s3, v2
	s_clause 0x1
	s_load_b64 s[2:3], s[0:1], 0x0
	s_load_b64 s[4:5], s[0:1], 0x18
	s_mov_b32 s1, 0
	s_delay_alu instid0(VALU_DEP_1) | instskip(NEXT) | instid1(VALU_DEP_1)
	v_mul_hi_u32 v6, v2, v6
	v_add_nc_u32_e32 v8, v2, v6
	s_branch .LBB4_6
.LBB4_5:                                ;   in Loop: Header=BB4_6 Depth=1
	s_set_inst_prefetch_distance 0x2
	s_or_b32 exec_lo, exec_lo, s13
	v_add_nc_u32_e32 v1, s26, v1
	s_delay_alu instid0(VALU_DEP_1) | instskip(NEXT) | instid1(VALU_DEP_1)
	v_ashrrev_i32_e32 v2, 31, v1
	v_cmp_le_u64_e32 vcc_lo, v[3:4], v[1:2]
	s_or_b32 s1, vcc_lo, s1
	s_delay_alu instid0(SALU_CYCLE_1)
	s_and_not1_b32 exec_lo, exec_lo, s1
	s_cbranch_execz .LBB4_17
.LBB4_6:                                ; =>This Loop Header: Depth=1
                                        ;     Child Loop BB4_16 Depth 2
	v_sub_nc_u32_e32 v0, 0, v1
	s_mov_b32 s0, -1
	s_delay_alu instid0(VALU_DEP_1) | instskip(NEXT) | instid1(VALU_DEP_1)
	v_max_i32_e32 v2, v1, v0
	v_mul_hi_u32 v0, v2, v8
	s_delay_alu instid0(VALU_DEP_1) | instskip(NEXT) | instid1(VALU_DEP_1)
	v_mul_lo_u32 v0, v0, s25
	v_sub_nc_u32_e32 v0, v2, v0
	s_delay_alu instid0(VALU_DEP_1) | instskip(SKIP_1) | instid1(VALU_DEP_2)
	v_subrev_nc_u32_e32 v5, s25, v0
	v_cmp_le_u32_e32 vcc_lo, s25, v0
	v_cndmask_b32_e32 v0, v0, v5, vcc_lo
	v_ashrrev_i32_e32 v5, 31, v1
	s_delay_alu instid0(VALU_DEP_2) | instskip(SKIP_1) | instid1(VALU_DEP_2)
	v_subrev_nc_u32_e32 v6, s25, v0
	v_cmp_le_u32_e32 vcc_lo, s25, v0
	v_cndmask_b32_e32 v0, v0, v6, vcc_lo
	s_and_b32 vcc_lo, exec_lo, s29
	s_delay_alu instid0(VALU_DEP_1) | instskip(NEXT) | instid1(VALU_DEP_1)
	v_xor_b32_e32 v0, v0, v5
	v_sub_nc_u32_e32 v6, v0, v5
	s_delay_alu instid0(VALU_DEP_1)
	v_cvt_f32_i32_e32 v9, v6
                                        ; implicit-def: $vgpr6
	s_cbranch_vccz .LBB4_8
; %bb.7:                                ;   in Loop: Header=BB4_6 Depth=1
	s_delay_alu instid0(VALU_DEP_1)
	v_mul_f32_e32 v6, s11, v9
	s_mov_b32 s0, 0
.LBB4_8:                                ;   in Loop: Header=BB4_6 Depth=1
	s_delay_alu instid0(SALU_CYCLE_1)
	s_and_not1_b32 vcc_lo, exec_lo, s0
	s_cbranch_vccnz .LBB4_10
; %bb.9:                                ;   in Loop: Header=BB4_6 Depth=1
	s_delay_alu instid0(VALU_DEP_1) | instskip(NEXT) | instid1(VALU_DEP_1)
	v_add_f32_e32 v6, 0.5, v9
	v_fma_f32 v6, v6, s11, -0.5
	s_delay_alu instid0(VALU_DEP_1)
	v_max_f32_e32 v6, 0, v6
.LBB4_10:                               ;   in Loop: Header=BB4_6 Depth=1
	v_mul_hi_u32 v9, v2, v7
	s_delay_alu instid0(VALU_DEP_1) | instskip(NEXT) | instid1(VALU_DEP_1)
	v_mul_lo_u32 v10, v9, s24
	v_sub_nc_u32_e32 v2, v2, v10
	v_add_nc_u32_e32 v10, 1, v9
	s_delay_alu instid0(VALU_DEP_2) | instskip(SKIP_1) | instid1(VALU_DEP_2)
	v_subrev_nc_u32_e32 v11, s24, v2
	v_cmp_le_u32_e32 vcc_lo, s24, v2
	v_dual_cndmask_b32 v9, v9, v10 :: v_dual_cndmask_b32 v2, v2, v11
	v_xor_b32_e32 v11, s27, v5
	s_delay_alu instid0(VALU_DEP_2) | instskip(NEXT) | instid1(VALU_DEP_3)
	v_add_nc_u32_e32 v10, 1, v9
	v_cmp_le_u32_e32 vcc_lo, s24, v2
	s_delay_alu instid0(VALU_DEP_2) | instskip(NEXT) | instid1(VALU_DEP_1)
	v_cndmask_b32_e32 v2, v9, v10, vcc_lo
	v_xor_b32_e32 v2, v2, v11
	s_delay_alu instid0(VALU_DEP_1) | instskip(NEXT) | instid1(VALU_DEP_1)
	v_sub_nc_u32_e32 v9, v2, v11
	v_mul_lo_u32 v2, v9, s12
	s_delay_alu instid0(VALU_DEP_1) | instskip(NEXT) | instid1(VALU_DEP_1)
	v_sub_nc_u32_e32 v2, v1, v2
	v_sub_nc_u32_e32 v10, 0, v2
	s_delay_alu instid0(VALU_DEP_1) | instskip(SKIP_1) | instid1(VALU_DEP_2)
	v_max_i32_e32 v10, v2, v10
	v_ashrrev_i32_e32 v2, 31, v2
	v_mul_hi_u32 v11, v10, v8
	s_delay_alu instid0(VALU_DEP_1) | instskip(NEXT) | instid1(VALU_DEP_1)
	v_mul_lo_u32 v12, v11, s25
	v_sub_nc_u32_e32 v10, v10, v12
	v_add_nc_u32_e32 v12, 1, v11
	s_delay_alu instid0(VALU_DEP_2) | instskip(SKIP_1) | instid1(VALU_DEP_2)
	v_subrev_nc_u32_e32 v13, s25, v10
	v_cmp_le_u32_e32 vcc_lo, s25, v10
	v_dual_cndmask_b32 v11, v11, v12 :: v_dual_cndmask_b32 v10, v10, v13
	v_xor_b32_e32 v12, s28, v2
	s_delay_alu instid0(VALU_DEP_2) | instskip(NEXT) | instid1(VALU_DEP_3)
	v_add_nc_u32_e32 v13, 1, v11
	v_cmp_le_u32_e32 vcc_lo, s25, v10
	s_delay_alu instid0(VALU_DEP_2) | instskip(SKIP_1) | instid1(VALU_DEP_1)
	v_cndmask_b32_e32 v2, v11, v13, vcc_lo
	s_and_b32 vcc_lo, exec_lo, s29
	v_xor_b32_e32 v2, v2, v12
	s_delay_alu instid0(VALU_DEP_1) | instskip(NEXT) | instid1(VALU_DEP_1)
	v_sub_nc_u32_e32 v10, v2, v12
	v_cvt_f32_i32_e32 v10, v10
	s_cbranch_vccz .LBB4_12
; %bb.11:                               ;   in Loop: Header=BB4_6 Depth=1
	s_delay_alu instid0(VALU_DEP_1)
	v_mul_f32_e32 v11, s10, v10
	s_cbranch_execz .LBB4_13
	s_branch .LBB4_14
.LBB4_12:                               ;   in Loop: Header=BB4_6 Depth=1
                                        ; implicit-def: $vgpr11
.LBB4_13:                               ;   in Loop: Header=BB4_6 Depth=1
	s_delay_alu instid0(VALU_DEP_1) | instskip(NEXT) | instid1(VALU_DEP_1)
	v_add_f32_e32 v10, 0.5, v10
	v_fma_f32 v10, v10, s10, -0.5
	s_delay_alu instid0(VALU_DEP_1)
	v_max_f32_e32 v11, 0, v10
.LBB4_14:                               ;   in Loop: Header=BB4_6 Depth=1
	v_lshlrev_b32_e32 v9, 3, v9
	s_mov_b32 s13, exec_lo
	s_delay_alu instid0(VALU_DEP_1)
	v_cmpx_ne_u32_e32 0x7ffffff8, v9
	s_cbranch_execz .LBB4_5
; %bb.15:                               ;   in Loop: Header=BB4_6 Depth=1
	v_cvt_i32_f32_e32 v14, v11
	v_cvt_i32_f32_e32 v20, v6
	v_mul_lo_u32 v13, v9, s14
	s_mov_b64 s[22:23], 0
	s_mov_b32 s15, 0
	v_cvt_f32_i32_e32 v19, v14
	v_add_nc_u32_e32 v10, 8, v9
	v_min_i32_e32 v18, s8, v14
	s_delay_alu instid0(VALU_DEP_3) | instskip(SKIP_3) | instid1(VALU_DEP_4)
	v_sub_f32_e32 v11, v11, v19
	v_cvt_f32_i32_e32 v19, v20
	v_add_nc_u32_e32 v15, 1, v14
	v_add_nc_u32_e32 v14, 1, v20
	v_cvt_u32_f32_e32 v11, v11
	s_delay_alu instid0(VALU_DEP_4) | instskip(NEXT) | instid1(VALU_DEP_4)
	v_sub_f32_e32 v6, v6, v19
	v_min_i32_e32 v21, s8, v15
	s_delay_alu instid0(VALU_DEP_4) | instskip(SKIP_1) | instid1(VALU_DEP_3)
	v_ashrrev_i32_e32 v15, 31, v14
	v_mad_u64_u32 v[16:17], null, v18, s9, v[13:14]
	v_mad_u64_u32 v[17:18], null, v21, s9, v[13:14]
	s_delay_alu instid0(VALU_DEP_3) | instskip(SKIP_1) | instid1(VALU_DEP_4)
	v_cmp_lt_i64_e32 vcc_lo, s[16:17], v[14:15]
	v_ashrrev_i32_e32 v21, 31, v20
	v_ashrrev_i32_e32 v22, 31, v16
	v_add_co_u32 v18, s0, v20, v16
	v_cndmask_b32_e64 v25, v14, s16, vcc_lo
	v_mad_u64_u32 v[13:14], null, s6, v9, v[2:3]
	s_delay_alu instid0(VALU_DEP_4) | instskip(SKIP_3) | instid1(VALU_DEP_4)
	v_add_co_ci_u32_e64 v19, s0, v21, v22, s0
	v_cndmask_b32_e64 v24, v15, s17, vcc_lo
	v_cvt_u32_f32_e32 v2, v6
	v_ashrrev_i32_e32 v6, 31, v17
	v_lshlrev_b64 v[14:15], 2, v[18:19]
	v_sub_nc_u32_e32 v12, v13, v12
	v_add_co_u32 v18, vcc_lo, v25, v16
	v_add_co_ci_u32_e32 v19, vcc_lo, v24, v22, vcc_lo
	s_delay_alu instid0(VALU_DEP_3)
	v_mad_u64_u32 v[22:23], null, s7, v12, v[0:1]
	v_add_co_u32 v20, vcc_lo, v20, v17
	v_add_co_ci_u32_e32 v21, vcc_lo, v21, v6, vcc_lo
	s_waitcnt lgkmcnt(0)
	v_add_co_u32 v0, vcc_lo, s4, v14
	v_add_co_ci_u32_e32 v12, vcc_lo, s5, v15, vcc_lo
	v_add_co_u32 v17, vcc_lo, v25, v17
	v_sub_nc_u32_e32 v5, v22, v5
	v_lshlrev_b64 v[13:14], 2, v[18:19]
	v_add_co_ci_u32_e32 v18, vcc_lo, v24, v6, vcc_lo
	v_lshlrev_b64 v[15:16], 2, v[20:21]
	s_delay_alu instid0(VALU_DEP_4) | instskip(NEXT) | instid1(VALU_DEP_4)
	v_ashrrev_i32_e32 v6, 31, v5
	v_add_co_u32 v13, vcc_lo, s4, v13
	s_delay_alu instid0(VALU_DEP_4)
	v_lshlrev_b64 v[17:18], 2, v[17:18]
	v_add_co_ci_u32_e32 v14, vcc_lo, s5, v14, vcc_lo
	v_add_co_u32 v15, vcc_lo, s4, v15
	v_lshlrev_b64 v[5:6], 2, v[5:6]
	v_add_co_ci_u32_e32 v16, vcc_lo, s5, v16, vcc_lo
	v_add_co_u32 v17, vcc_lo, s4, v17
	v_add_co_ci_u32_e32 v18, vcc_lo, s5, v18, vcc_lo
	s_delay_alu instid0(VALU_DEP_4)
	v_add_co_u32 v5, vcc_lo, s2, v5
	v_add_co_ci_u32_e32 v6, vcc_lo, s3, v6, vcc_lo
	s_set_inst_prefetch_distance 0x1
	.p2align	6
.LBB4_16:                               ;   Parent Loop BB4_6 Depth=1
                                        ; =>  This Inner Loop Header: Depth=2
	v_add_co_u32 v19, vcc_lo, v13, s22
	v_add_co_ci_u32_e32 v20, vcc_lo, s23, v14, vcc_lo
	v_add_co_u32 v21, vcc_lo, v15, s22
	v_add_co_ci_u32_e32 v22, vcc_lo, s23, v16, vcc_lo
	;; [unrolled: 2-line block ×3, first 2 shown]
	s_clause 0x2
	global_load_b32 v27, v[19:20], off
	global_load_b32 v19, v[21:22], off
	;; [unrolled: 1-line block ×3, first 2 shown]
	v_add_co_u32 v25, vcc_lo, v17, s22
	v_add_co_ci_u32_e32 v26, vcc_lo, s23, v18, vcc_lo
	v_add_nc_u32_e32 v9, 1, v9
	s_add_u32 s22, s22, s18
	s_addc_u32 s23, s23, s19
	global_load_b32 v20, v[25:26], off
	v_cmp_ge_i32_e32 vcc_lo, v9, v10
	s_or_b32 s15, vcc_lo, s15
	s_waitcnt vmcnt(2)
	v_add_nc_u32_e32 v21, v27, v19
	s_waitcnt vmcnt(1)
	v_sub_nc_u32_e32 v19, v19, v22
	s_delay_alu instid0(VALU_DEP_2) | instskip(SKIP_1) | instid1(VALU_DEP_1)
	v_sub_nc_u32_e32 v21, v22, v21
	s_waitcnt vmcnt(0)
	v_add_nc_u32_e32 v23, v21, v20
	s_delay_alu instid0(VALU_DEP_1) | instskip(SKIP_1) | instid1(VALU_DEP_1)
	v_mad_u64_u32 v[20:21], null, v23, v2, v[19:20]
	v_sub_nc_u32_e32 v19, v27, v22
	v_mul_lo_u32 v19, v19, v2
	s_delay_alu instid0(VALU_DEP_3) | instskip(NEXT) | instid1(VALU_DEP_1)
	v_mul_lo_u32 v20, v20, v11
	v_add3_u32 v19, v19, v22, v20
	global_store_b32 v[5:6], v19, off
	v_add_co_u32 v5, s0, v5, s20
	s_delay_alu instid0(VALU_DEP_1)
	v_add_co_ci_u32_e64 v6, s0, s21, v6, s0
	s_and_not1_b32 exec_lo, exec_lo, s15
	s_cbranch_execnz .LBB4_16
	s_branch .LBB4_5
.LBB4_17:
	s_nop 0
	s_sendmsg sendmsg(MSG_DEALLOC_VGPRS)
	s_endpgm
.LBB4_18:
                                        ; implicit-def: $vgpr1_vgpr2
	s_branch .LBB4_2
	.section	.rodata,"a",@progbits
	.p2align	6, 0x0
	.amdhsa_kernel _Z15resize_bilinearIjLm8EEvPT_miiPKS0_iiffb
		.amdhsa_group_segment_fixed_size 0
		.amdhsa_private_segment_fixed_size 0
		.amdhsa_kernarg_size 312
		.amdhsa_user_sgpr_count 15
		.amdhsa_user_sgpr_dispatch_ptr 0
		.amdhsa_user_sgpr_queue_ptr 0
		.amdhsa_user_sgpr_kernarg_segment_ptr 1
		.amdhsa_user_sgpr_dispatch_id 0
		.amdhsa_user_sgpr_private_segment_size 0
		.amdhsa_wavefront_size32 1
		.amdhsa_uses_dynamic_stack 0
		.amdhsa_enable_private_segment 0
		.amdhsa_system_sgpr_workgroup_id_x 1
		.amdhsa_system_sgpr_workgroup_id_y 0
		.amdhsa_system_sgpr_workgroup_id_z 0
		.amdhsa_system_sgpr_workgroup_info 0
		.amdhsa_system_vgpr_workitem_id 0
		.amdhsa_next_free_vgpr 28
		.amdhsa_next_free_sgpr 30
		.amdhsa_reserve_vcc 1
		.amdhsa_float_round_mode_32 0
		.amdhsa_float_round_mode_16_64 0
		.amdhsa_float_denorm_mode_32 3
		.amdhsa_float_denorm_mode_16_64 3
		.amdhsa_dx10_clamp 1
		.amdhsa_ieee_mode 1
		.amdhsa_fp16_overflow 0
		.amdhsa_workgroup_processor_mode 1
		.amdhsa_memory_ordered 1
		.amdhsa_forward_progress 0
		.amdhsa_shared_vgpr_count 0
		.amdhsa_exception_fp_ieee_invalid_op 0
		.amdhsa_exception_fp_denorm_src 0
		.amdhsa_exception_fp_ieee_div_zero 0
		.amdhsa_exception_fp_ieee_overflow 0
		.amdhsa_exception_fp_ieee_underflow 0
		.amdhsa_exception_fp_ieee_inexact 0
		.amdhsa_exception_int_div_zero 0
	.end_amdhsa_kernel
	.section	.text._Z15resize_bilinearIjLm8EEvPT_miiPKS0_iiffb,"axG",@progbits,_Z15resize_bilinearIjLm8EEvPT_miiPKS0_iiffb,comdat
.Lfunc_end4:
	.size	_Z15resize_bilinearIjLm8EEvPT_miiPKS0_iiffb, .Lfunc_end4-_Z15resize_bilinearIjLm8EEvPT_miiPKS0_iiffb
                                        ; -- End function
	.section	.AMDGPU.csdata,"",@progbits
; Kernel info:
; codeLenInByte = 2140
; NumSgprs: 32
; NumVgprs: 28
; ScratchSize: 0
; MemoryBound: 0
; FloatMode: 240
; IeeeMode: 1
; LDSByteSize: 0 bytes/workgroup (compile time only)
; SGPRBlocks: 3
; VGPRBlocks: 3
; NumSGPRsForWavesPerEU: 32
; NumVGPRsForWavesPerEU: 28
; Occupancy: 16
; WaveLimiterHint : 0
; COMPUTE_PGM_RSRC2:SCRATCH_EN: 0
; COMPUTE_PGM_RSRC2:USER_SGPR: 15
; COMPUTE_PGM_RSRC2:TRAP_HANDLER: 0
; COMPUTE_PGM_RSRC2:TGID_X_EN: 1
; COMPUTE_PGM_RSRC2:TGID_Y_EN: 0
; COMPUTE_PGM_RSRC2:TGID_Z_EN: 0
; COMPUTE_PGM_RSRC2:TIDIG_COMP_CNT: 0
	.section	.text._Z6resizeIjLm8EEvPT_miiPKS0_iiffbb,"axG",@progbits,_Z6resizeIjLm8EEvPT_miiPKS0_iiffbb,comdat
	.protected	_Z6resizeIjLm8EEvPT_miiPKS0_iiffbb ; -- Begin function _Z6resizeIjLm8EEvPT_miiPKS0_iiffbb
	.globl	_Z6resizeIjLm8EEvPT_miiPKS0_iiffbb
	.p2align	8
	.type	_Z6resizeIjLm8EEvPT_miiPKS0_iiffbb,@function
_Z6resizeIjLm8EEvPT_miiPKS0_iiffbb:     ; @_Z6resizeIjLm8EEvPT_miiPKS0_iiffbb
; %bb.0:
	s_load_b128 s[4:7], s[0:1], 0x8
	s_waitcnt lgkmcnt(0)
	s_mul_i32 s12, s7, s6
	s_delay_alu instid0(SALU_CYCLE_1) | instskip(NEXT) | instid1(SALU_CYCLE_1)
	s_ashr_i32 s13, s12, 31
	s_or_b64 s[8:9], s[4:5], s[12:13]
	s_mov_b32 s8, 0
	s_delay_alu instid0(SALU_CYCLE_1)
	s_cmp_lg_u64 s[8:9], 0
	s_cbranch_scc0 .LBB5_15
; %bb.1:
	v_cvt_f32_u32_e32 v1, s12
	v_cvt_f32_u32_e32 v2, s13
	s_sub_u32 s6, 0, s12
	s_subb_u32 s9, 0, s13
	s_delay_alu instid0(VALU_DEP_1) | instskip(NEXT) | instid1(VALU_DEP_1)
	v_fmamk_f32 v1, v2, 0x4f800000, v1
	v_rcp_f32_e32 v1, v1
	s_waitcnt_depctr 0xfff
	v_mul_f32_e32 v1, 0x5f7ffffc, v1
	s_delay_alu instid0(VALU_DEP_1) | instskip(NEXT) | instid1(VALU_DEP_1)
	v_mul_f32_e32 v2, 0x2f800000, v1
	v_trunc_f32_e32 v2, v2
	s_delay_alu instid0(VALU_DEP_1) | instskip(SKIP_1) | instid1(VALU_DEP_2)
	v_fmamk_f32 v1, v2, 0xcf800000, v1
	v_cvt_u32_f32_e32 v2, v2
	v_cvt_u32_f32_e32 v1, v1
	s_delay_alu instid0(VALU_DEP_2) | instskip(NEXT) | instid1(VALU_DEP_2)
	v_readfirstlane_b32 s2, v2
	v_readfirstlane_b32 s3, v1
	s_delay_alu instid0(VALU_DEP_2) | instskip(NEXT) | instid1(VALU_DEP_1)
	s_mul_i32 s10, s6, s2
	s_mul_hi_u32 s14, s6, s3
	s_mul_i32 s11, s9, s3
	s_add_i32 s10, s14, s10
	s_mul_i32 s16, s6, s3
	s_add_i32 s10, s10, s11
	s_mul_hi_u32 s14, s3, s16
	s_mul_hi_u32 s17, s2, s16
	s_mul_i32 s11, s2, s16
	s_mul_hi_u32 s16, s3, s10
	s_mul_i32 s3, s3, s10
	s_mul_hi_u32 s18, s2, s10
	s_add_u32 s3, s14, s3
	s_addc_u32 s14, 0, s16
	s_add_u32 s3, s3, s11
	s_mul_i32 s10, s2, s10
	s_addc_u32 s3, s14, s17
	s_addc_u32 s11, s18, 0
	s_add_u32 s3, s3, s10
	s_addc_u32 s10, 0, s11
	v_add_co_u32 v1, s3, v1, s3
	s_delay_alu instid0(VALU_DEP_1) | instskip(SKIP_1) | instid1(VALU_DEP_1)
	s_cmp_lg_u32 s3, 0
	s_addc_u32 s2, s2, s10
	v_readfirstlane_b32 s3, v1
	s_mul_i32 s10, s6, s2
	s_delay_alu instid0(VALU_DEP_1)
	s_mul_hi_u32 s11, s6, s3
	s_mul_i32 s9, s9, s3
	s_add_i32 s10, s11, s10
	s_mul_i32 s6, s6, s3
	s_add_i32 s10, s10, s9
	s_mul_hi_u32 s11, s2, s6
	s_mul_i32 s14, s2, s6
	s_mul_hi_u32 s6, s3, s6
	s_mul_hi_u32 s16, s3, s10
	s_mul_i32 s3, s3, s10
	s_mul_hi_u32 s9, s2, s10
	s_add_u32 s3, s6, s3
	s_addc_u32 s6, 0, s16
	s_add_u32 s3, s3, s14
	s_mul_i32 s10, s2, s10
	s_addc_u32 s3, s6, s11
	s_addc_u32 s6, s9, 0
	s_add_u32 s3, s3, s10
	s_addc_u32 s6, 0, s6
	v_add_co_u32 v1, s3, v1, s3
	s_delay_alu instid0(VALU_DEP_1) | instskip(SKIP_1) | instid1(VALU_DEP_1)
	s_cmp_lg_u32 s3, 0
	s_addc_u32 s2, s2, s6
	v_readfirstlane_b32 s3, v1
	s_mul_i32 s9, s4, s2
	s_mul_hi_u32 s6, s4, s2
	s_mul_hi_u32 s10, s5, s2
	s_mul_i32 s2, s5, s2
	s_mul_hi_u32 s11, s4, s3
	s_mul_hi_u32 s14, s5, s3
	s_mul_i32 s3, s5, s3
	s_add_u32 s9, s11, s9
	s_addc_u32 s6, 0, s6
	s_add_u32 s3, s9, s3
	s_addc_u32 s3, s6, s14
	s_addc_u32 s6, s10, 0
	s_add_u32 s3, s3, s2
	s_addc_u32 s6, 0, s6
	s_mul_hi_u32 s2, s12, s3
	s_mul_i32 s10, s12, s6
	s_mul_i32 s11, s12, s3
	s_add_i32 s2, s2, s10
	v_sub_co_u32 v1, s10, s4, s11
	s_mul_i32 s9, s13, s3
	s_delay_alu instid0(SALU_CYCLE_1) | instskip(NEXT) | instid1(VALU_DEP_1)
	s_add_i32 s2, s2, s9
	v_sub_co_u32 v2, s11, v1, s12
	s_sub_i32 s9, s5, s2
	s_cmp_lg_u32 s10, 0
	s_subb_u32 s9, s9, s13
	s_cmp_lg_u32 s11, 0
	v_cmp_le_u32_e32 vcc_lo, s12, v2
	s_subb_u32 s9, s9, 0
	s_delay_alu instid0(SALU_CYCLE_1)
	s_cmp_ge_u32 s9, s13
	v_cndmask_b32_e64 v2, 0, -1, vcc_lo
	s_cselect_b32 s11, -1, 0
	s_cmp_eq_u32 s9, s13
	s_cselect_b32 vcc_lo, -1, 0
	s_add_u32 s9, s3, 1
	v_cndmask_b32_e32 v2, s11, v2, vcc_lo
	s_addc_u32 s11, s6, 0
	s_add_u32 s14, s3, 2
	s_addc_u32 s16, s6, 0
	v_mov_b32_e32 v3, s14
	s_cmp_lg_u32 s10, 0
	v_cmp_le_u32_e32 vcc_lo, s12, v1
	s_subb_u32 s2, s5, s2
	s_delay_alu instid0(SALU_CYCLE_1)
	s_cmp_ge_u32 s2, s13
	v_cndmask_b32_e64 v1, 0, -1, vcc_lo
	s_cselect_b32 s5, -1, 0
	s_cmp_eq_u32 s2, s13
	v_cmp_ne_u32_e32 vcc_lo, 0, v2
	s_cselect_b32 s2, -1, 0
	v_mov_b32_e32 v2, s16
	v_cndmask_b32_e64 v1, s5, v1, s2
	v_cndmask_b32_e32 v3, s9, v3, vcc_lo
	s_delay_alu instid0(VALU_DEP_3) | instskip(NEXT) | instid1(VALU_DEP_3)
	v_cndmask_b32_e32 v2, s11, v2, vcc_lo
	v_cmp_ne_u32_e32 vcc_lo, 0, v1
	s_delay_alu instid0(VALU_DEP_2) | instskip(NEXT) | instid1(VALU_DEP_4)
	v_cndmask_b32_e32 v2, s6, v2, vcc_lo
	v_cndmask_b32_e32 v1, s3, v3, vcc_lo
	s_and_not1_b32 vcc_lo, exec_lo, s8
	s_cbranch_vccnz .LBB5_3
.LBB5_2:
	v_cvt_f32_u32_e32 v1, s12
	s_sub_i32 s3, 0, s12
	s_delay_alu instid0(VALU_DEP_1) | instskip(SKIP_2) | instid1(VALU_DEP_1)
	v_rcp_iflag_f32_e32 v1, v1
	s_waitcnt_depctr 0xfff
	v_mul_f32_e32 v1, 0x4f7ffffe, v1
	v_cvt_u32_f32_e32 v1, v1
	s_delay_alu instid0(VALU_DEP_1) | instskip(NEXT) | instid1(VALU_DEP_1)
	v_readfirstlane_b32 s2, v1
	s_mul_i32 s3, s3, s2
	s_delay_alu instid0(SALU_CYCLE_1) | instskip(NEXT) | instid1(SALU_CYCLE_1)
	s_mul_hi_u32 s3, s2, s3
	s_add_i32 s2, s2, s3
	s_delay_alu instid0(SALU_CYCLE_1) | instskip(NEXT) | instid1(SALU_CYCLE_1)
	s_mul_hi_u32 s2, s4, s2
	s_mul_i32 s3, s2, s12
	s_delay_alu instid0(SALU_CYCLE_1)
	s_sub_i32 s3, s4, s3
	s_add_i32 s4, s2, 1
	s_sub_i32 s5, s3, s12
	s_cmp_ge_u32 s3, s12
	s_cselect_b32 s2, s4, s2
	s_cselect_b32 s3, s5, s3
	s_add_i32 s4, s2, 1
	s_cmp_ge_u32 s3, s12
	s_mov_b32 s3, 0
	s_cselect_b32 s2, s4, s2
	s_delay_alu instid0(SALU_CYCLE_1)
	v_dual_mov_b32 v1, s2 :: v_dual_mov_b32 v2, s3
.LBB5_3:
	s_load_b32 s2, s[0:1], 0x44
	s_delay_alu instid0(VALU_DEP_1) | instskip(SKIP_3) | instid1(VALU_DEP_2)
	v_alignbit_b32 v3, v2, v1, 3
	v_lshrrev_b32_e32 v1, 3, v2
	s_add_u32 s4, s0, 56
	s_addc_u32 s5, s1, 0
	v_mul_lo_u32 v4, v3, s13
	v_mul_hi_u32 v5, v3, s12
	v_mul_lo_u32 v6, v1, s12
	v_mul_lo_u32 v3, v3, s12
	s_waitcnt lgkmcnt(0)
	s_and_b32 s17, s2, 0xffff
	s_mov_b32 s2, exec_lo
	v_mad_u64_u32 v[1:2], null, s15, s17, v[0:1]
	s_delay_alu instid0(VALU_DEP_4) | instskip(NEXT) | instid1(VALU_DEP_1)
	v_add_nc_u32_e32 v0, v5, v4
	v_add_nc_u32_e32 v4, v0, v6
	s_delay_alu instid0(VALU_DEP_3) | instskip(NEXT) | instid1(VALU_DEP_1)
	v_ashrrev_i32_e32 v2, 31, v1
	v_cmpx_gt_u64_e64 v[3:4], v[1:2]
	s_cbranch_execz .LBB5_14
; %bb.4:
	s_clause 0x1
	s_load_b32 s2, s[0:1], 0x30
	s_load_b128 s[8:11], s[0:1], 0x20
	s_load_b32 s23, s[4:5], 0x0
	s_waitcnt lgkmcnt(0)
	s_bitcmp1_b32 s2, 0
	s_mul_i32 s16, s9, s8
	s_cselect_b32 s3, -1, 0
	s_mul_i32 s23, s23, s17
	s_xor_b32 s3, s3, -1
	s_bitcmp1_b32 s2, 8
	s_cselect_b32 s2, -1, 0
	s_abs_i32 s6, s12
	s_abs_i32 s22, s7
	v_cvt_f32_u32_e32 v0, s6
	v_cvt_f32_u32_e32 v2, s22
	s_sub_i32 s4, 0, s6
	s_sub_i32 s5, 0, s22
	s_ashr_i32 s17, s16, 31
	v_rcp_iflag_f32_e32 v0, v0
	v_rcp_iflag_f32_e32 v2, v2
	s_add_i32 s24, s9, -1
	s_add_i32 s8, s8, -1
	s_ashr_i32 s25, s12, 31
	s_ashr_i32 s26, s7, 31
	s_sub_i32 s27, 0, s12
	s_lshl_b64 s[18:19], s[16:17], 2
	s_lshl_b64 s[20:21], s[12:13], 2
	s_waitcnt_depctr 0xfff
	v_mul_f32_e32 v0, 0x4f7ffffe, v0
	v_mul_f32_e32 v2, 0x4f7ffffe, v2
	s_delay_alu instid0(VALU_DEP_2) | instskip(NEXT) | instid1(VALU_DEP_2)
	v_cvt_u32_f32_e32 v0, v0
	v_cvt_u32_f32_e32 v2, v2
	s_delay_alu instid0(VALU_DEP_2) | instskip(NEXT) | instid1(VALU_DEP_2)
	v_mul_lo_u32 v5, s4, v0
	v_mul_lo_u32 v6, s5, v2
	s_clause 0x1
	s_load_b64 s[4:5], s[0:1], 0x0
	s_load_b64 s[14:15], s[0:1], 0x18
	s_mov_b32 s1, 0
	s_delay_alu instid0(VALU_DEP_2) | instskip(NEXT) | instid1(VALU_DEP_2)
	v_mul_hi_u32 v5, v0, v5
	v_mul_hi_u32 v6, v2, v6
	s_delay_alu instid0(VALU_DEP_2) | instskip(NEXT) | instid1(VALU_DEP_2)
	v_add_nc_u32_e32 v0, v0, v5
	v_add_nc_u32_e32 v8, v2, v6
	s_branch .LBB5_6
.LBB5_5:                                ;   in Loop: Header=BB5_6 Depth=1
	v_lshlrev_b32_e32 v7, 3, v10
	v_min_i32_e32 v5, s8, v5
	s_delay_alu instid0(VALU_DEP_3) | instskip(SKIP_4) | instid1(VALU_DEP_1)
	v_min_i32_e32 v6, s24, v6
	v_mul_lo_u32 v2, v2, s7
	v_add_nc_u32_e32 v1, s23, v1
	v_mul_lo_u32 v10, v7, s16
	v_mul_lo_u32 v5, v5, s9
	v_add3_u32 v5, v5, v10, v6
	s_delay_alu instid0(VALU_DEP_1) | instskip(NEXT) | instid1(VALU_DEP_1)
	v_ashrrev_i32_e32 v6, 31, v5
	v_lshlrev_b64 v[5:6], 2, v[5:6]
	s_waitcnt lgkmcnt(0)
	s_delay_alu instid0(VALU_DEP_1) | instskip(NEXT) | instid1(VALU_DEP_2)
	v_add_co_u32 v5, vcc_lo, s14, v5
	v_add_co_ci_u32_e32 v6, vcc_lo, s15, v6, vcc_lo
	s_delay_alu instid0(VALU_DEP_2) | instskip(NEXT) | instid1(VALU_DEP_2)
	v_add_co_u32 v10, vcc_lo, v5, s18
	v_add_co_ci_u32_e32 v11, vcc_lo, s19, v6, vcc_lo
	s_delay_alu instid0(VALU_DEP_2) | instskip(NEXT) | instid1(VALU_DEP_2)
	;; [unrolled: 3-line block ×3, first 2 shown]
	v_add_co_u32 v14, vcc_lo, v12, s18
	v_add_co_ci_u32_e32 v15, vcc_lo, s19, v13, vcc_lo
	s_clause 0x3
	global_load_b32 v16, v[5:6], off
	global_load_b32 v17, v[10:11], off
	;; [unrolled: 1-line block ×4, first 2 shown]
	v_add_co_u32 v5, vcc_lo, v14, s18
	v_add_co_ci_u32_e32 v6, vcc_lo, s19, v15, vcc_lo
	s_delay_alu instid0(VALU_DEP_2) | instskip(NEXT) | instid1(VALU_DEP_2)
	v_add_co_u32 v10, vcc_lo, v5, s18
	v_add_co_ci_u32_e32 v11, vcc_lo, s19, v6, vcc_lo
	s_delay_alu instid0(VALU_DEP_2) | instskip(NEXT) | instid1(VALU_DEP_2)
	;; [unrolled: 3-line block ×3, first 2 shown]
	v_add_co_u32 v14, vcc_lo, v12, s18
	v_add_co_ci_u32_e32 v15, vcc_lo, s19, v13, vcc_lo
	s_clause 0x1
	global_load_b32 v20, v[5:6], off
	global_load_b32 v21, v[10:11], off
	;; [unrolled: 1-line block ×4, first 2 shown]
	v_mul_lo_u32 v5, v7, s12
	s_delay_alu instid0(VALU_DEP_1) | instskip(SKIP_1) | instid1(VALU_DEP_2)
	v_add3_u32 v5, v2, v5, v9
	v_ashrrev_i32_e32 v2, 31, v1
	v_ashrrev_i32_e32 v6, 31, v5
	s_delay_alu instid0(VALU_DEP_1) | instskip(NEXT) | instid1(VALU_DEP_1)
	v_lshlrev_b64 v[5:6], 2, v[5:6]
	v_add_co_u32 v5, vcc_lo, s4, v5
	s_delay_alu instid0(VALU_DEP_2) | instskip(NEXT) | instid1(VALU_DEP_2)
	v_add_co_ci_u32_e32 v6, vcc_lo, s5, v6, vcc_lo
	v_add_co_u32 v9, vcc_lo, v5, s20
	s_delay_alu instid0(VALU_DEP_2) | instskip(NEXT) | instid1(VALU_DEP_2)
	v_add_co_ci_u32_e32 v10, vcc_lo, s21, v6, vcc_lo
	;; [unrolled: 3-line block ×3, first 2 shown]
	v_add_co_u32 v13, vcc_lo, v11, s20
	s_delay_alu instid0(VALU_DEP_2)
	v_add_co_ci_u32_e32 v14, vcc_lo, s21, v12, vcc_lo
	s_waitcnt vmcnt(7)
	global_store_b32 v[5:6], v16, off
	s_waitcnt vmcnt(6)
	global_store_b32 v[9:10], v17, off
	;; [unrolled: 2-line block ×4, first 2 shown]
	v_add_co_u32 v5, vcc_lo, v13, s20
	v_add_co_ci_u32_e32 v6, vcc_lo, s21, v14, vcc_lo
	s_delay_alu instid0(VALU_DEP_2) | instskip(NEXT) | instid1(VALU_DEP_2)
	v_add_co_u32 v9, vcc_lo, v5, s20
	v_add_co_ci_u32_e32 v10, vcc_lo, s21, v6, vcc_lo
	s_waitcnt vmcnt(3)
	global_store_b32 v[5:6], v20, off
	s_waitcnt vmcnt(2)
	global_store_b32 v[9:10], v21, off
	v_add_co_u32 v11, vcc_lo, v9, s20
	v_add_co_ci_u32_e32 v12, vcc_lo, s21, v10, vcc_lo
	v_cmp_le_u64_e32 vcc_lo, v[3:4], v[1:2]
	s_delay_alu instid0(VALU_DEP_3) | instskip(NEXT) | instid1(VALU_DEP_1)
	v_add_co_u32 v13, s0, v11, s20
	v_add_co_ci_u32_e64 v14, s0, s21, v12, s0
	s_waitcnt vmcnt(1)
	global_store_b32 v[11:12], v22, off
	s_waitcnt vmcnt(0)
	global_store_b32 v[13:14], v15, off
	s_or_b32 s1, vcc_lo, s1
	s_delay_alu instid0(SALU_CYCLE_1)
	s_and_not1_b32 exec_lo, exec_lo, s1
	s_cbranch_execz .LBB5_14
.LBB5_6:                                ; =>This Inner Loop Header: Depth=1
	v_sub_nc_u32_e32 v2, 0, v1
	v_ashrrev_i32_e32 v7, 31, v1
	s_mov_b32 s0, -1
	s_delay_alu instid0(VALU_DEP_2) | instskip(NEXT) | instid1(VALU_DEP_1)
	v_max_i32_e32 v9, v1, v2
	v_mul_hi_u32 v2, v9, v0
	s_delay_alu instid0(VALU_DEP_1) | instskip(SKIP_1) | instid1(VALU_DEP_2)
	v_mul_lo_u32 v5, v2, s6
	v_add_nc_u32_e32 v6, 1, v2
	v_sub_nc_u32_e32 v5, v9, v5
	s_delay_alu instid0(VALU_DEP_1) | instskip(SKIP_1) | instid1(VALU_DEP_4)
	v_subrev_nc_u32_e32 v10, s6, v5
	v_cmp_le_u32_e32 vcc_lo, s6, v5
	v_cndmask_b32_e32 v2, v2, v6, vcc_lo
	s_delay_alu instid0(VALU_DEP_3) | instskip(SKIP_1) | instid1(VALU_DEP_3)
	v_cndmask_b32_e32 v5, v5, v10, vcc_lo
	v_xor_b32_e32 v10, s25, v7
	v_add_nc_u32_e32 v6, 1, v2
	s_delay_alu instid0(VALU_DEP_3) | instskip(NEXT) | instid1(VALU_DEP_2)
	v_cmp_le_u32_e32 vcc_lo, s6, v5
	v_cndmask_b32_e32 v2, v2, v6, vcc_lo
	s_delay_alu instid0(VALU_DEP_1) | instskip(NEXT) | instid1(VALU_DEP_1)
	v_xor_b32_e32 v2, v2, v10
	v_sub_nc_u32_e32 v10, v2, v10
	s_delay_alu instid0(VALU_DEP_1) | instskip(SKIP_1) | instid1(VALU_DEP_2)
	v_mad_u64_u32 v[5:6], null, s27, v10, v[1:2]
	v_mul_lo_u32 v2, v10, s12
	v_ashrrev_i32_e32 v5, 31, v5
	s_delay_alu instid0(VALU_DEP_1) | instskip(NEXT) | instid1(VALU_DEP_1)
	v_sub_nc_u32_e32 v2, v5, v2
	v_add_nc_u32_e32 v2, v1, v2
	s_delay_alu instid0(VALU_DEP_1) | instskip(SKIP_1) | instid1(VALU_DEP_2)
	v_xor_b32_e32 v2, v2, v5
	v_xor_b32_e32 v5, s26, v5
	v_mul_hi_u32 v6, v2, v8
	s_delay_alu instid0(VALU_DEP_1) | instskip(NEXT) | instid1(VALU_DEP_1)
	v_mul_lo_u32 v11, v6, s22
	v_sub_nc_u32_e32 v2, v2, v11
	s_delay_alu instid0(VALU_DEP_1) | instskip(SKIP_1) | instid1(VALU_DEP_2)
	v_subrev_nc_u32_e32 v12, s22, v2
	v_cmp_le_u32_e32 vcc_lo, s22, v2
	v_dual_cndmask_b32 v2, v2, v12 :: v_dual_add_nc_u32 v11, 1, v6
	s_delay_alu instid0(VALU_DEP_1) | instskip(NEXT) | instid1(VALU_DEP_2)
	v_cndmask_b32_e32 v6, v6, v11, vcc_lo
	v_cmp_le_u32_e32 vcc_lo, s22, v2
	s_delay_alu instid0(VALU_DEP_2) | instskip(NEXT) | instid1(VALU_DEP_1)
	v_add_nc_u32_e32 v11, 1, v6
	v_cndmask_b32_e32 v2, v6, v11, vcc_lo
	s_and_b32 vcc_lo, exec_lo, s3
	s_delay_alu instid0(VALU_DEP_1) | instskip(NEXT) | instid1(VALU_DEP_1)
	v_xor_b32_e32 v2, v2, v5
	v_sub_nc_u32_e32 v2, v2, v5
	s_delay_alu instid0(VALU_DEP_1) | instskip(NEXT) | instid1(VALU_DEP_1)
	v_cvt_f32_i32_e32 v5, v2
	v_add_f32_e32 v6, 0.5, v5
	s_delay_alu instid0(VALU_DEP_1) | instskip(NEXT) | instid1(VALU_DEP_1)
	v_cndmask_b32_e64 v5, v5, v6, s2
	v_mul_f32_e32 v11, s10, v5
                                        ; implicit-def: $vgpr5_vgpr6
	s_cbranch_vccz .LBB5_8
; %bb.7:                                ;   in Loop: Header=BB5_6 Depth=1
	s_delay_alu instid0(VALU_DEP_1)
	v_cvt_i32_f32_e32 v5, v11
	s_mov_b32 s0, 0
.LBB5_8:                                ;   in Loop: Header=BB5_6 Depth=1
	s_delay_alu instid0(SALU_CYCLE_1)
	s_and_not1_b32 vcc_lo, exec_lo, s0
	s_cbranch_vccnz .LBB5_10
; %bb.9:                                ;   in Loop: Header=BB5_6 Depth=1
	s_delay_alu instid0(VALU_DEP_1) | instskip(NEXT) | instid1(VALU_DEP_1)
	v_trunc_f32_e32 v5, v11
	v_sub_f32_e32 v6, v11, v5
	s_delay_alu instid0(VALU_DEP_1) | instskip(NEXT) | instid1(VALU_DEP_1)
	v_cmp_ge_f32_e64 s0, |v6|, 0.5
	v_cndmask_b32_e64 v6, 0, 1.0, s0
	s_delay_alu instid0(VALU_DEP_1) | instskip(NEXT) | instid1(VALU_DEP_1)
	v_bfi_b32 v6, 0x7fffffff, v6, v11
	v_add_f32_e32 v5, v5, v6
	s_delay_alu instid0(VALU_DEP_1) | instskip(NEXT) | instid1(VALU_DEP_1)
	v_trunc_f32_e32 v5, v5
	v_mul_f32_e64 v6, 0x2f800000, |v5|
	s_delay_alu instid0(VALU_DEP_1) | instskip(NEXT) | instid1(VALU_DEP_1)
	v_floor_f32_e32 v6, v6
	v_fma_f32 v6, 0xcf800000, v6, |v5|
	v_ashrrev_i32_e32 v5, 31, v5
	s_delay_alu instid0(VALU_DEP_2) | instskip(NEXT) | instid1(VALU_DEP_1)
	v_cvt_u32_f32_e32 v6, v6
	v_xor_b32_e32 v6, v6, v5
	s_delay_alu instid0(VALU_DEP_1)
	v_sub_co_u32 v5, vcc_lo, v6, v5
.LBB5_10:                               ;   in Loop: Header=BB5_6 Depth=1
	v_mul_hi_u32 v6, v9, v8
	s_delay_alu instid0(VALU_DEP_1) | instskip(NEXT) | instid1(VALU_DEP_1)
	v_mul_lo_u32 v6, v6, s22
	v_sub_nc_u32_e32 v6, v9, v6
	s_delay_alu instid0(VALU_DEP_1) | instskip(SKIP_1) | instid1(VALU_DEP_2)
	v_subrev_nc_u32_e32 v9, s22, v6
	v_cmp_le_u32_e32 vcc_lo, s22, v6
	v_cndmask_b32_e32 v6, v6, v9, vcc_lo
	s_delay_alu instid0(VALU_DEP_1) | instskip(SKIP_1) | instid1(VALU_DEP_2)
	v_subrev_nc_u32_e32 v9, s22, v6
	v_cmp_le_u32_e32 vcc_lo, s22, v6
	v_cndmask_b32_e32 v6, v6, v9, vcc_lo
	s_and_b32 vcc_lo, exec_lo, s3
	s_delay_alu instid0(VALU_DEP_1) | instskip(NEXT) | instid1(VALU_DEP_1)
	v_xor_b32_e32 v6, v6, v7
	v_sub_nc_u32_e32 v9, v6, v7
	s_delay_alu instid0(VALU_DEP_1) | instskip(NEXT) | instid1(VALU_DEP_1)
	v_cvt_f32_i32_e32 v6, v9
	v_add_f32_e32 v7, 0.5, v6
	s_delay_alu instid0(VALU_DEP_1) | instskip(NEXT) | instid1(VALU_DEP_1)
	v_cndmask_b32_e64 v6, v6, v7, s2
	v_mul_f32_e32 v11, s11, v6
	s_cbranch_vccz .LBB5_12
; %bb.11:                               ;   in Loop: Header=BB5_6 Depth=1
	s_delay_alu instid0(VALU_DEP_1)
	v_cvt_i32_f32_e32 v6, v11
	s_cbranch_execnz .LBB5_5
	s_branch .LBB5_13
.LBB5_12:                               ;   in Loop: Header=BB5_6 Depth=1
                                        ; implicit-def: $vgpr6_vgpr7
.LBB5_13:                               ;   in Loop: Header=BB5_6 Depth=1
	s_delay_alu instid0(VALU_DEP_1) | instskip(NEXT) | instid1(VALU_DEP_1)
	v_trunc_f32_e32 v6, v11
	v_sub_f32_e32 v7, v11, v6
	s_delay_alu instid0(VALU_DEP_1) | instskip(NEXT) | instid1(VALU_DEP_1)
	v_cmp_ge_f32_e64 s0, |v7|, 0.5
	v_cndmask_b32_e64 v7, 0, 1.0, s0
	s_delay_alu instid0(VALU_DEP_1) | instskip(NEXT) | instid1(VALU_DEP_1)
	v_bfi_b32 v7, 0x7fffffff, v7, v11
	v_add_f32_e32 v6, v6, v7
	s_delay_alu instid0(VALU_DEP_1) | instskip(NEXT) | instid1(VALU_DEP_1)
	v_trunc_f32_e32 v6, v6
	v_mul_f32_e64 v7, 0x2f800000, |v6|
	s_delay_alu instid0(VALU_DEP_1) | instskip(NEXT) | instid1(VALU_DEP_1)
	v_floor_f32_e32 v7, v7
	v_fma_f32 v7, 0xcf800000, v7, |v6|
	v_ashrrev_i32_e32 v6, 31, v6
	s_delay_alu instid0(VALU_DEP_2) | instskip(NEXT) | instid1(VALU_DEP_1)
	v_cvt_u32_f32_e32 v7, v7
	v_xor_b32_e32 v7, v7, v6
	s_delay_alu instid0(VALU_DEP_1)
	v_sub_co_u32 v6, vcc_lo, v7, v6
	s_branch .LBB5_5
.LBB5_14:
	s_nop 0
	s_sendmsg sendmsg(MSG_DEALLOC_VGPRS)
	s_endpgm
.LBB5_15:
                                        ; implicit-def: $vgpr1_vgpr2
	s_branch .LBB5_2
	.section	.rodata,"a",@progbits
	.p2align	6, 0x0
	.amdhsa_kernel _Z6resizeIjLm8EEvPT_miiPKS0_iiffbb
		.amdhsa_group_segment_fixed_size 0
		.amdhsa_private_segment_fixed_size 0
		.amdhsa_kernarg_size 312
		.amdhsa_user_sgpr_count 15
		.amdhsa_user_sgpr_dispatch_ptr 0
		.amdhsa_user_sgpr_queue_ptr 0
		.amdhsa_user_sgpr_kernarg_segment_ptr 1
		.amdhsa_user_sgpr_dispatch_id 0
		.amdhsa_user_sgpr_private_segment_size 0
		.amdhsa_wavefront_size32 1
		.amdhsa_uses_dynamic_stack 0
		.amdhsa_enable_private_segment 0
		.amdhsa_system_sgpr_workgroup_id_x 1
		.amdhsa_system_sgpr_workgroup_id_y 0
		.amdhsa_system_sgpr_workgroup_id_z 0
		.amdhsa_system_sgpr_workgroup_info 0
		.amdhsa_system_vgpr_workitem_id 0
		.amdhsa_next_free_vgpr 23
		.amdhsa_next_free_sgpr 28
		.amdhsa_reserve_vcc 1
		.amdhsa_float_round_mode_32 0
		.amdhsa_float_round_mode_16_64 0
		.amdhsa_float_denorm_mode_32 3
		.amdhsa_float_denorm_mode_16_64 3
		.amdhsa_dx10_clamp 1
		.amdhsa_ieee_mode 1
		.amdhsa_fp16_overflow 0
		.amdhsa_workgroup_processor_mode 1
		.amdhsa_memory_ordered 1
		.amdhsa_forward_progress 0
		.amdhsa_shared_vgpr_count 0
		.amdhsa_exception_fp_ieee_invalid_op 0
		.amdhsa_exception_fp_denorm_src 0
		.amdhsa_exception_fp_ieee_div_zero 0
		.amdhsa_exception_fp_ieee_overflow 0
		.amdhsa_exception_fp_ieee_underflow 0
		.amdhsa_exception_fp_ieee_inexact 0
		.amdhsa_exception_int_div_zero 0
	.end_amdhsa_kernel
	.section	.text._Z6resizeIjLm8EEvPT_miiPKS0_iiffbb,"axG",@progbits,_Z6resizeIjLm8EEvPT_miiPKS0_iiffbb,comdat
.Lfunc_end5:
	.size	_Z6resizeIjLm8EEvPT_miiPKS0_iiffbb, .Lfunc_end5-_Z6resizeIjLm8EEvPT_miiPKS0_iiffbb
                                        ; -- End function
	.section	.AMDGPU.csdata,"",@progbits
; Kernel info:
; codeLenInByte = 2320
; NumSgprs: 30
; NumVgprs: 23
; ScratchSize: 0
; MemoryBound: 0
; FloatMode: 240
; IeeeMode: 1
; LDSByteSize: 0 bytes/workgroup (compile time only)
; SGPRBlocks: 3
; VGPRBlocks: 2
; NumSGPRsForWavesPerEU: 30
; NumVGPRsForWavesPerEU: 23
; Occupancy: 16
; WaveLimiterHint : 0
; COMPUTE_PGM_RSRC2:SCRATCH_EN: 0
; COMPUTE_PGM_RSRC2:USER_SGPR: 15
; COMPUTE_PGM_RSRC2:TRAP_HANDLER: 0
; COMPUTE_PGM_RSRC2:TGID_X_EN: 1
; COMPUTE_PGM_RSRC2:TGID_Y_EN: 0
; COMPUTE_PGM_RSRC2:TGID_Z_EN: 0
; COMPUTE_PGM_RSRC2:TIDIG_COMP_CNT: 0
	.text
	.p2alignl 7, 3214868480
	.fill 96, 4, 3214868480
	.type	__hip_cuid_8072938366e04e69,@object ; @__hip_cuid_8072938366e04e69
	.section	.bss,"aw",@nobits
	.globl	__hip_cuid_8072938366e04e69
__hip_cuid_8072938366e04e69:
	.byte	0                               ; 0x0
	.size	__hip_cuid_8072938366e04e69, 1

	.ident	"AMD clang version 19.0.0git (https://github.com/RadeonOpenCompute/llvm-project roc-6.4.0 25133 c7fe45cf4b819c5991fe208aaa96edf142730f1d)"
	.section	".note.GNU-stack","",@progbits
	.addrsig
	.addrsig_sym __hip_cuid_8072938366e04e69
	.amdgpu_metadata
---
amdhsa.kernels:
  - .args:
      - .actual_access:  write_only
        .address_space:  global
        .offset:         0
        .size:           8
        .value_kind:     global_buffer
      - .offset:         8
        .size:           8
        .value_kind:     by_value
      - .offset:         16
        .size:           4
        .value_kind:     by_value
      - .offset:         20
        .size:           4
        .value_kind:     by_value
      - .actual_access:  read_only
        .address_space:  global
        .offset:         24
        .size:           8
        .value_kind:     global_buffer
      - .offset:         32
        .size:           4
        .value_kind:     by_value
      - .offset:         36
        .size:           4
        .value_kind:     by_value
      - .offset:         40
        .size:           4
        .value_kind:     by_value
      - .offset:         44
        .size:           4
        .value_kind:     by_value
      - .offset:         48
        .size:           1
        .value_kind:     by_value
      - .offset:         56
        .size:           4
        .value_kind:     hidden_block_count_x
      - .offset:         60
        .size:           4
        .value_kind:     hidden_block_count_y
      - .offset:         64
        .size:           4
        .value_kind:     hidden_block_count_z
      - .offset:         68
        .size:           2
        .value_kind:     hidden_group_size_x
      - .offset:         70
        .size:           2
        .value_kind:     hidden_group_size_y
      - .offset:         72
        .size:           2
        .value_kind:     hidden_group_size_z
      - .offset:         74
        .size:           2
        .value_kind:     hidden_remainder_x
      - .offset:         76
        .size:           2
        .value_kind:     hidden_remainder_y
      - .offset:         78
        .size:           2
        .value_kind:     hidden_remainder_z
      - .offset:         96
        .size:           8
        .value_kind:     hidden_global_offset_x
      - .offset:         104
        .size:           8
        .value_kind:     hidden_global_offset_y
      - .offset:         112
        .size:           8
        .value_kind:     hidden_global_offset_z
      - .offset:         120
        .size:           2
        .value_kind:     hidden_grid_dims
    .group_segment_fixed_size: 0
    .kernarg_segment_align: 8
    .kernarg_segment_size: 312
    .language:       OpenCL C
    .language_version:
      - 2
      - 0
    .max_flat_workgroup_size: 1024
    .name:           _Z15resize_bilinearIhLm8EEvPT_miiPKS0_iiffb
    .private_segment_fixed_size: 0
    .sgpr_count:     30
    .sgpr_spill_count: 0
    .symbol:         _Z15resize_bilinearIhLm8EEvPT_miiPKS0_iiffb.kd
    .uniform_work_group_size: 1
    .uses_dynamic_stack: false
    .vgpr_count:     27
    .vgpr_spill_count: 0
    .wavefront_size: 32
    .workgroup_processor_mode: 1
  - .args:
      - .actual_access:  write_only
        .address_space:  global
        .offset:         0
        .size:           8
        .value_kind:     global_buffer
      - .offset:         8
        .size:           8
        .value_kind:     by_value
      - .offset:         16
        .size:           4
        .value_kind:     by_value
      - .offset:         20
        .size:           4
        .value_kind:     by_value
      - .actual_access:  read_only
        .address_space:  global
        .offset:         24
        .size:           8
        .value_kind:     global_buffer
      - .offset:         32
        .size:           4
        .value_kind:     by_value
      - .offset:         36
        .size:           4
        .value_kind:     by_value
      - .offset:         40
        .size:           4
        .value_kind:     by_value
      - .offset:         44
        .size:           4
        .value_kind:     by_value
      - .offset:         48
        .size:           1
        .value_kind:     by_value
      - .offset:         49
        .size:           1
        .value_kind:     by_value
      - .offset:         56
        .size:           4
        .value_kind:     hidden_block_count_x
      - .offset:         60
        .size:           4
        .value_kind:     hidden_block_count_y
      - .offset:         64
        .size:           4
        .value_kind:     hidden_block_count_z
      - .offset:         68
        .size:           2
        .value_kind:     hidden_group_size_x
      - .offset:         70
        .size:           2
        .value_kind:     hidden_group_size_y
      - .offset:         72
        .size:           2
        .value_kind:     hidden_group_size_z
      - .offset:         74
        .size:           2
        .value_kind:     hidden_remainder_x
      - .offset:         76
        .size:           2
        .value_kind:     hidden_remainder_y
      - .offset:         78
        .size:           2
        .value_kind:     hidden_remainder_z
      - .offset:         96
        .size:           8
        .value_kind:     hidden_global_offset_x
      - .offset:         104
        .size:           8
        .value_kind:     hidden_global_offset_y
      - .offset:         112
        .size:           8
        .value_kind:     hidden_global_offset_z
      - .offset:         120
        .size:           2
        .value_kind:     hidden_grid_dims
    .group_segment_fixed_size: 0
    .kernarg_segment_align: 8
    .kernarg_segment_size: 312
    .language:       OpenCL C
    .language_version:
      - 2
      - 0
    .max_flat_workgroup_size: 1024
    .name:           _Z6resizeIhLm8EEvPT_miiPKS0_iiffbb
    .private_segment_fixed_size: 0
    .sgpr_count:     26
    .sgpr_spill_count: 0
    .symbol:         _Z6resizeIhLm8EEvPT_miiPKS0_iiffbb.kd
    .uniform_work_group_size: 1
    .uses_dynamic_stack: false
    .vgpr_count:     23
    .vgpr_spill_count: 0
    .wavefront_size: 32
    .workgroup_processor_mode: 1
  - .args:
      - .actual_access:  write_only
        .address_space:  global
        .offset:         0
        .size:           8
        .value_kind:     global_buffer
      - .offset:         8
        .size:           8
        .value_kind:     by_value
      - .offset:         16
        .size:           4
        .value_kind:     by_value
      - .offset:         20
        .size:           4
        .value_kind:     by_value
      - .actual_access:  read_only
        .address_space:  global
        .offset:         24
        .size:           8
        .value_kind:     global_buffer
      - .offset:         32
        .size:           4
        .value_kind:     by_value
      - .offset:         36
        .size:           4
        .value_kind:     by_value
      - .offset:         40
        .size:           4
        .value_kind:     by_value
      - .offset:         44
        .size:           4
        .value_kind:     by_value
      - .offset:         48
        .size:           1
        .value_kind:     by_value
      - .offset:         56
        .size:           4
        .value_kind:     hidden_block_count_x
      - .offset:         60
        .size:           4
        .value_kind:     hidden_block_count_y
      - .offset:         64
        .size:           4
        .value_kind:     hidden_block_count_z
      - .offset:         68
        .size:           2
        .value_kind:     hidden_group_size_x
      - .offset:         70
        .size:           2
        .value_kind:     hidden_group_size_y
      - .offset:         72
        .size:           2
        .value_kind:     hidden_group_size_z
      - .offset:         74
        .size:           2
        .value_kind:     hidden_remainder_x
      - .offset:         76
        .size:           2
        .value_kind:     hidden_remainder_y
      - .offset:         78
        .size:           2
        .value_kind:     hidden_remainder_z
      - .offset:         96
        .size:           8
        .value_kind:     hidden_global_offset_x
      - .offset:         104
        .size:           8
        .value_kind:     hidden_global_offset_y
      - .offset:         112
        .size:           8
        .value_kind:     hidden_global_offset_z
      - .offset:         120
        .size:           2
        .value_kind:     hidden_grid_dims
    .group_segment_fixed_size: 0
    .kernarg_segment_align: 8
    .kernarg_segment_size: 312
    .language:       OpenCL C
    .language_version:
      - 2
      - 0
    .max_flat_workgroup_size: 1024
    .name:           _Z15resize_bilinearItLm8EEvPT_miiPKS0_iiffb
    .private_segment_fixed_size: 0
    .sgpr_count:     32
    .sgpr_spill_count: 0
    .symbol:         _Z15resize_bilinearItLm8EEvPT_miiPKS0_iiffb.kd
    .uniform_work_group_size: 1
    .uses_dynamic_stack: false
    .vgpr_count:     27
    .vgpr_spill_count: 0
    .wavefront_size: 32
    .workgroup_processor_mode: 1
  - .args:
      - .actual_access:  write_only
        .address_space:  global
        .offset:         0
        .size:           8
        .value_kind:     global_buffer
      - .offset:         8
        .size:           8
        .value_kind:     by_value
      - .offset:         16
        .size:           4
        .value_kind:     by_value
      - .offset:         20
        .size:           4
        .value_kind:     by_value
      - .actual_access:  read_only
        .address_space:  global
        .offset:         24
        .size:           8
        .value_kind:     global_buffer
      - .offset:         32
        .size:           4
        .value_kind:     by_value
      - .offset:         36
        .size:           4
        .value_kind:     by_value
      - .offset:         40
        .size:           4
        .value_kind:     by_value
      - .offset:         44
        .size:           4
        .value_kind:     by_value
      - .offset:         48
        .size:           1
        .value_kind:     by_value
      - .offset:         49
        .size:           1
        .value_kind:     by_value
      - .offset:         56
        .size:           4
        .value_kind:     hidden_block_count_x
      - .offset:         60
        .size:           4
        .value_kind:     hidden_block_count_y
      - .offset:         64
        .size:           4
        .value_kind:     hidden_block_count_z
      - .offset:         68
        .size:           2
        .value_kind:     hidden_group_size_x
      - .offset:         70
        .size:           2
        .value_kind:     hidden_group_size_y
      - .offset:         72
        .size:           2
        .value_kind:     hidden_group_size_z
      - .offset:         74
        .size:           2
        .value_kind:     hidden_remainder_x
      - .offset:         76
        .size:           2
        .value_kind:     hidden_remainder_y
      - .offset:         78
        .size:           2
        .value_kind:     hidden_remainder_z
      - .offset:         96
        .size:           8
        .value_kind:     hidden_global_offset_x
      - .offset:         104
        .size:           8
        .value_kind:     hidden_global_offset_y
      - .offset:         112
        .size:           8
        .value_kind:     hidden_global_offset_z
      - .offset:         120
        .size:           2
        .value_kind:     hidden_grid_dims
    .group_segment_fixed_size: 0
    .kernarg_segment_align: 8
    .kernarg_segment_size: 312
    .language:       OpenCL C
    .language_version:
      - 2
      - 0
    .max_flat_workgroup_size: 1024
    .name:           _Z6resizeItLm8EEvPT_miiPKS0_iiffbb
    .private_segment_fixed_size: 0
    .sgpr_count:     30
    .sgpr_spill_count: 0
    .symbol:         _Z6resizeItLm8EEvPT_miiPKS0_iiffbb.kd
    .uniform_work_group_size: 1
    .uses_dynamic_stack: false
    .vgpr_count:     23
    .vgpr_spill_count: 0
    .wavefront_size: 32
    .workgroup_processor_mode: 1
  - .args:
      - .actual_access:  write_only
        .address_space:  global
        .offset:         0
        .size:           8
        .value_kind:     global_buffer
      - .offset:         8
        .size:           8
        .value_kind:     by_value
      - .offset:         16
        .size:           4
        .value_kind:     by_value
      - .offset:         20
        .size:           4
        .value_kind:     by_value
      - .actual_access:  read_only
        .address_space:  global
        .offset:         24
        .size:           8
        .value_kind:     global_buffer
      - .offset:         32
        .size:           4
        .value_kind:     by_value
      - .offset:         36
        .size:           4
        .value_kind:     by_value
      - .offset:         40
        .size:           4
        .value_kind:     by_value
      - .offset:         44
        .size:           4
        .value_kind:     by_value
      - .offset:         48
        .size:           1
        .value_kind:     by_value
      - .offset:         56
        .size:           4
        .value_kind:     hidden_block_count_x
      - .offset:         60
        .size:           4
        .value_kind:     hidden_block_count_y
      - .offset:         64
        .size:           4
        .value_kind:     hidden_block_count_z
      - .offset:         68
        .size:           2
        .value_kind:     hidden_group_size_x
      - .offset:         70
        .size:           2
        .value_kind:     hidden_group_size_y
      - .offset:         72
        .size:           2
        .value_kind:     hidden_group_size_z
      - .offset:         74
        .size:           2
        .value_kind:     hidden_remainder_x
      - .offset:         76
        .size:           2
        .value_kind:     hidden_remainder_y
      - .offset:         78
        .size:           2
        .value_kind:     hidden_remainder_z
      - .offset:         96
        .size:           8
        .value_kind:     hidden_global_offset_x
      - .offset:         104
        .size:           8
        .value_kind:     hidden_global_offset_y
      - .offset:         112
        .size:           8
        .value_kind:     hidden_global_offset_z
      - .offset:         120
        .size:           2
        .value_kind:     hidden_grid_dims
    .group_segment_fixed_size: 0
    .kernarg_segment_align: 8
    .kernarg_segment_size: 312
    .language:       OpenCL C
    .language_version:
      - 2
      - 0
    .max_flat_workgroup_size: 1024
    .name:           _Z15resize_bilinearIjLm8EEvPT_miiPKS0_iiffb
    .private_segment_fixed_size: 0
    .sgpr_count:     32
    .sgpr_spill_count: 0
    .symbol:         _Z15resize_bilinearIjLm8EEvPT_miiPKS0_iiffb.kd
    .uniform_work_group_size: 1
    .uses_dynamic_stack: false
    .vgpr_count:     28
    .vgpr_spill_count: 0
    .wavefront_size: 32
    .workgroup_processor_mode: 1
  - .args:
      - .actual_access:  write_only
        .address_space:  global
        .offset:         0
        .size:           8
        .value_kind:     global_buffer
      - .offset:         8
        .size:           8
        .value_kind:     by_value
      - .offset:         16
        .size:           4
        .value_kind:     by_value
      - .offset:         20
        .size:           4
        .value_kind:     by_value
      - .actual_access:  read_only
        .address_space:  global
        .offset:         24
        .size:           8
        .value_kind:     global_buffer
      - .offset:         32
        .size:           4
        .value_kind:     by_value
      - .offset:         36
        .size:           4
        .value_kind:     by_value
      - .offset:         40
        .size:           4
        .value_kind:     by_value
      - .offset:         44
        .size:           4
        .value_kind:     by_value
      - .offset:         48
        .size:           1
        .value_kind:     by_value
      - .offset:         49
        .size:           1
        .value_kind:     by_value
      - .offset:         56
        .size:           4
        .value_kind:     hidden_block_count_x
      - .offset:         60
        .size:           4
        .value_kind:     hidden_block_count_y
      - .offset:         64
        .size:           4
        .value_kind:     hidden_block_count_z
      - .offset:         68
        .size:           2
        .value_kind:     hidden_group_size_x
      - .offset:         70
        .size:           2
        .value_kind:     hidden_group_size_y
      - .offset:         72
        .size:           2
        .value_kind:     hidden_group_size_z
      - .offset:         74
        .size:           2
        .value_kind:     hidden_remainder_x
      - .offset:         76
        .size:           2
        .value_kind:     hidden_remainder_y
      - .offset:         78
        .size:           2
        .value_kind:     hidden_remainder_z
      - .offset:         96
        .size:           8
        .value_kind:     hidden_global_offset_x
      - .offset:         104
        .size:           8
        .value_kind:     hidden_global_offset_y
      - .offset:         112
        .size:           8
        .value_kind:     hidden_global_offset_z
      - .offset:         120
        .size:           2
        .value_kind:     hidden_grid_dims
    .group_segment_fixed_size: 0
    .kernarg_segment_align: 8
    .kernarg_segment_size: 312
    .language:       OpenCL C
    .language_version:
      - 2
      - 0
    .max_flat_workgroup_size: 1024
    .name:           _Z6resizeIjLm8EEvPT_miiPKS0_iiffbb
    .private_segment_fixed_size: 0
    .sgpr_count:     30
    .sgpr_spill_count: 0
    .symbol:         _Z6resizeIjLm8EEvPT_miiPKS0_iiffbb.kd
    .uniform_work_group_size: 1
    .uses_dynamic_stack: false
    .vgpr_count:     23
    .vgpr_spill_count: 0
    .wavefront_size: 32
    .workgroup_processor_mode: 1
amdhsa.target:   amdgcn-amd-amdhsa--gfx1100
amdhsa.version:
  - 1
  - 2
...

	.end_amdgpu_metadata
